;; amdgpu-corpus repo=ROCm/rocFFT kind=compiled arch=gfx950 opt=O3
	.text
	.amdgcn_target "amdgcn-amd-amdhsa--gfx950"
	.amdhsa_code_object_version 6
	.protected	bluestein_single_back_len1700_dim1_half_op_CI_CI ; -- Begin function bluestein_single_back_len1700_dim1_half_op_CI_CI
	.globl	bluestein_single_back_len1700_dim1_half_op_CI_CI
	.p2align	8
	.type	bluestein_single_back_len1700_dim1_half_op_CI_CI,@function
bluestein_single_back_len1700_dim1_half_op_CI_CI: ; @bluestein_single_back_len1700_dim1_half_op_CI_CI
; %bb.0:
	s_load_dwordx4 s[8:11], s[0:1], 0x28
	v_mul_u32_u24_e32 v1, 0x182, v0
	v_add_u32_sdwa v18, s2, v1 dst_sel:DWORD dst_unused:UNUSED_PAD src0_sel:DWORD src1_sel:WORD_1
	v_mov_b32_e32 v19, 0
	s_waitcnt lgkmcnt(0)
	v_cmp_gt_u64_e32 vcc, s[8:9], v[18:19]
	s_and_saveexec_b64 s[2:3], vcc
	s_cbranch_execz .LBB0_15
; %bb.1:
	s_load_dwordx2 s[12:13], s[0:1], 0x0
	s_load_dwordx2 s[14:15], s[0:1], 0x38
	s_movk_i32 s2, 0xaa
	v_mul_lo_u16_sdwa v1, v1, s2 dst_sel:DWORD dst_unused:UNUSED_PAD src0_sel:WORD_1 src1_sel:DWORD
	v_sub_u16_e32 v19, v0, v1
	s_movk_i32 s2, 0x64
	v_cmp_gt_u16_e64 s[2:3], s2, v19
	v_lshlrev_b32_e32 v16, 2, v19
	s_and_saveexec_b64 s[8:9], s[2:3]
	s_cbranch_execz .LBB0_3
; %bb.2:
	s_load_dwordx2 s[4:5], s[0:1], 0x18
	v_mov_b32_e32 v0, s10
	v_mov_b32_e32 v1, s11
	;; [unrolled: 1-line block ×3, first 2 shown]
	s_waitcnt lgkmcnt(0)
	s_load_dwordx4 s[4:7], s[4:5], 0x0
	s_waitcnt lgkmcnt(0)
	v_mad_u64_u32 v[2:3], s[10:11], s6, v18, 0
	v_mad_u64_u32 v[4:5], s[10:11], s4, v19, 0
	v_mov_b32_e32 v6, v3
	v_mov_b32_e32 v8, v5
	v_mad_u64_u32 v[6:7], s[6:7], s7, v18, v[6:7]
	v_mov_b32_e32 v3, v6
	v_mad_u64_u32 v[6:7], s[6:7], s5, v19, v[8:9]
	v_mov_b32_e32 v5, v6
	v_lshl_add_u64 v[0:1], v[2:3], 2, v[0:1]
	v_lshl_add_u64 v[0:1], v[4:5], 2, v[0:1]
	global_load_dword v4, v[0:1], off
	v_mov_b32_e32 v5, 0x190
	global_load_dword v6, v16, s[12:13]
	v_mad_u64_u32 v[0:1], s[6:7], s4, v5, v[0:1]
	s_mulk_i32 s5, 0x190
	v_add_u32_e32 v1, s5, v1
	global_load_dword v7, v[0:1], off
	global_load_dword v8, v16, s[12:13] offset:400
	v_mad_u64_u32 v[0:1], s[6:7], s4, v5, v[0:1]
	v_add_u32_e32 v1, s5, v1
	global_load_dword v9, v[0:1], off
	global_load_dword v10, v16, s[12:13] offset:800
	v_mad_u64_u32 v[0:1], s[6:7], s4, v5, v[0:1]
	;; [unrolled: 4-line block ×3, first 2 shown]
	v_add_u32_e32 v1, s5, v1
	global_load_dword v13, v16, s[12:13] offset:1600
	global_load_dword v14, v16, s[12:13] offset:2000
	;; [unrolled: 1-line block ×7, first 2 shown]
	global_load_dword v24, v[0:1], off
	s_movk_i32 s6, 0x1000
	v_lshl_add_u64 v[2:3], s[12:13], 0, v[16:17]
	v_add_co_u32_e32 v2, vcc, s6, v2
	v_mad_u64_u32 v[0:1], s[6:7], s4, v5, v[0:1]
	v_add_u32_e32 v1, s5, v1
	v_addc_co_u32_e32 v3, vcc, 0, v3, vcc
	global_load_dword v17, v[0:1], off
	global_load_dword v25, v[2:3], off offset:304
	global_load_dword v26, v[2:3], off offset:704
	global_load_dword v27, v[2:3], off offset:1104
	global_load_dword v28, v[2:3], off offset:1504
	global_load_dword v29, v[2:3], off offset:1904
	global_load_dword v30, v[2:3], off offset:2304
	v_mad_u64_u32 v[0:1], s[6:7], s4, v5, v[0:1]
	v_add_u32_e32 v1, s5, v1
	global_load_dword v2, v[0:1], off
	v_mad_u64_u32 v[0:1], s[6:7], s4, v5, v[0:1]
	v_add_u32_e32 v1, s5, v1
	global_load_dword v3, v[0:1], off
	;; [unrolled: 3-line block ×5, first 2 shown]
	v_mad_u64_u32 v[0:1], s[6:7], s4, v5, v[0:1]
	v_add_u32_e32 v1, s5, v1
	s_waitcnt vmcnt(27)
	v_lshrrev_b32_e32 v34, 16, v4
	s_waitcnt vmcnt(26)
	v_mul_f16_sdwa v35, v6, v4 dst_sel:DWORD dst_unused:UNUSED_PAD src0_sel:WORD_1 src1_sel:DWORD
	v_mul_f16_sdwa v36, v6, v34 dst_sel:DWORD dst_unused:UNUSED_PAD src0_sel:WORD_1 src1_sel:DWORD
	v_fma_f16 v34, v6, v34, -v35
	v_fma_f16 v4, v6, v4, v36
	s_waitcnt vmcnt(25)
	v_lshrrev_b32_e32 v6, 16, v7
	s_waitcnt vmcnt(24)
	v_mul_f16_sdwa v35, v8, v7 dst_sel:DWORD dst_unused:UNUSED_PAD src0_sel:WORD_1 src1_sel:DWORD
	v_pack_b32_f16 v4, v4, v34
	v_mul_f16_sdwa v34, v8, v6 dst_sel:DWORD dst_unused:UNUSED_PAD src0_sel:WORD_1 src1_sel:DWORD
	v_fma_f16 v6, v8, v6, -v35
	v_fma_f16 v7, v8, v7, v34
	v_pack_b32_f16 v6, v7, v6
	ds_write2_b32 v16, v4, v6 offset1:100
	global_load_dword v6, v[0:1], off
	s_waitcnt vmcnt(24)
	v_lshrrev_b32_e32 v8, 16, v9
	s_waitcnt vmcnt(23)
	v_mul_f16_sdwa v7, v10, v8 dst_sel:DWORD dst_unused:UNUSED_PAD src0_sel:WORD_1 src1_sel:DWORD
	v_mad_u64_u32 v[0:1], s[6:7], s4, v5, v[0:1]
	v_fma_f16 v4, v10, v9, v7
	v_mul_f16_sdwa v7, v10, v9 dst_sel:DWORD dst_unused:UNUSED_PAD src0_sel:WORD_1 src1_sel:DWORD
	v_add_u32_e32 v1, s5, v1
	v_fma_f16 v7, v10, v8, -v7
	global_load_dword v8, v[0:1], off
	v_mad_u64_u32 v[0:1], s[6:7], s4, v5, v[0:1]
	v_add_u32_e32 v1, s5, v1
	global_load_dword v10, v[0:1], off
	v_pack_b32_f16 v4, v4, v7
	s_waitcnt vmcnt(24)
	v_lshrrev_b32_e32 v7, 16, v11
	s_waitcnt vmcnt(23)
	v_mul_f16_sdwa v9, v12, v7 dst_sel:DWORD dst_unused:UNUSED_PAD src0_sel:WORD_1 src1_sel:DWORD
	v_mad_u64_u32 v[0:1], s[6:7], s4, v5, v[0:1]
	v_fma_f16 v9, v12, v11, v9
	v_mul_f16_sdwa v11, v12, v11 dst_sel:DWORD dst_unused:UNUSED_PAD src0_sel:WORD_1 src1_sel:DWORD
	v_add_u32_e32 v1, s5, v1
	v_fma_f16 v7, v12, v7, -v11
	global_load_dword v11, v[0:1], off
	v_mad_u64_u32 v[0:1], s[6:7], s4, v5, v[0:1]
	v_pack_b32_f16 v7, v9, v7
	v_add_u32_e32 v9, 0x200, v16
	v_add_u32_e32 v1, s5, v1
	ds_write2_b32 v9, v4, v7 offset0:72 offset1:172
	global_load_dword v7, v[0:1], off
	v_mad_u64_u32 v[0:1], s[6:7], s4, v5, v[0:1]
	v_add_u32_e32 v1, s5, v1
	global_load_dword v0, v[0:1], off
	s_waitcnt vmcnt(18)
	v_lshrrev_b32_e32 v4, 16, v24
	v_mul_f16_sdwa v9, v13, v4 dst_sel:DWORD dst_unused:UNUSED_PAD src0_sel:WORD_1 src1_sel:DWORD
	v_mul_f16_sdwa v12, v13, v24 dst_sel:DWORD dst_unused:UNUSED_PAD src0_sel:WORD_1 src1_sel:DWORD
	v_fma_f16 v9, v13, v24, v9
	v_fma_f16 v4, v13, v4, -v12
	v_pack_b32_f16 v1, v9, v4
	s_waitcnt vmcnt(17)
	v_lshrrev_b32_e32 v4, 16, v17
	v_mul_f16_sdwa v5, v14, v4 dst_sel:DWORD dst_unused:UNUSED_PAD src0_sel:WORD_1 src1_sel:DWORD
	v_mul_f16_sdwa v9, v14, v17 dst_sel:DWORD dst_unused:UNUSED_PAD src0_sel:WORD_1 src1_sel:DWORD
	v_fma_f16 v5, v14, v17, v5
	v_fma_f16 v4, v14, v4, -v9
	v_pack_b32_f16 v4, v5, v4
	v_add_u32_e32 v5, 0x400, v16
	ds_write2_b32 v5, v1, v4 offset0:144 offset1:244
	s_waitcnt vmcnt(10)
	v_lshrrev_b32_e32 v1, 16, v2
	v_mul_f16_sdwa v4, v15, v1 dst_sel:DWORD dst_unused:UNUSED_PAD src0_sel:WORD_1 src1_sel:DWORD
	v_fma_f16 v4, v15, v2, v4
	v_mul_f16_sdwa v2, v15, v2 dst_sel:DWORD dst_unused:UNUSED_PAD src0_sel:WORD_1 src1_sel:DWORD
	v_fma_f16 v1, v15, v1, -v2
	s_waitcnt vmcnt(9)
	v_lshrrev_b32_e32 v2, 16, v3
	v_pack_b32_f16 v1, v4, v1
	v_mul_f16_sdwa v4, v20, v2 dst_sel:DWORD dst_unused:UNUSED_PAD src0_sel:WORD_1 src1_sel:DWORD
	v_fma_f16 v4, v20, v3, v4
	v_mul_f16_sdwa v3, v20, v3 dst_sel:DWORD dst_unused:UNUSED_PAD src0_sel:WORD_1 src1_sel:DWORD
	v_fma_f16 v2, v20, v2, -v3
	v_pack_b32_f16 v2, v4, v2
	v_add_u32_e32 v3, 0x800, v16
	ds_write2_b32 v3, v1, v2 offset0:88 offset1:188
	s_waitcnt vmcnt(8)
	v_lshrrev_b32_e32 v1, 16, v31
	v_mul_f16_sdwa v2, v21, v1 dst_sel:DWORD dst_unused:UNUSED_PAD src0_sel:WORD_1 src1_sel:DWORD
	v_mul_f16_sdwa v3, v21, v31 dst_sel:DWORD dst_unused:UNUSED_PAD src0_sel:WORD_1 src1_sel:DWORD
	v_fma_f16 v2, v21, v31, v2
	v_fma_f16 v1, v21, v1, -v3
	v_pack_b32_f16 v1, v2, v1
	s_waitcnt vmcnt(7)
	v_lshrrev_b32_e32 v2, 16, v32
	v_mul_f16_sdwa v3, v22, v2 dst_sel:DWORD dst_unused:UNUSED_PAD src0_sel:WORD_1 src1_sel:DWORD
	v_mul_f16_sdwa v4, v22, v32 dst_sel:DWORD dst_unused:UNUSED_PAD src0_sel:WORD_1 src1_sel:DWORD
	v_fma_f16 v3, v22, v32, v3
	v_fma_f16 v2, v22, v2, -v4
	v_pack_b32_f16 v2, v3, v2
	v_add_u32_e32 v3, 0xc00, v16
	ds_write2_b32 v3, v1, v2 offset0:32 offset1:132
	s_waitcnt vmcnt(6)
	v_lshrrev_b32_e32 v1, 16, v33
	v_mul_f16_sdwa v2, v23, v1 dst_sel:DWORD dst_unused:UNUSED_PAD src0_sel:WORD_1 src1_sel:DWORD
	v_mul_f16_sdwa v3, v23, v33 dst_sel:DWORD dst_unused:UNUSED_PAD src0_sel:WORD_1 src1_sel:DWORD
	v_fma_f16 v2, v23, v33, v2
	v_fma_f16 v1, v23, v1, -v3
	v_pack_b32_f16 v1, v2, v1
	s_waitcnt vmcnt(5)
	v_lshrrev_b32_e32 v2, 16, v6
	v_mul_f16_sdwa v3, v25, v2 dst_sel:DWORD dst_unused:UNUSED_PAD src0_sel:WORD_1 src1_sel:DWORD
	v_mul_f16_sdwa v4, v25, v6 dst_sel:DWORD dst_unused:UNUSED_PAD src0_sel:WORD_1 src1_sel:DWORD
	v_fma_f16 v3, v25, v6, v3
	;; [unrolled: 16-line block ×4, first 2 shown]
	v_fma_f16 v2, v29, v2, -v4
	v_pack_b32_f16 v2, v3, v2
	v_add_u32_e32 v3, 0x1400, v16
	ds_write2_b32 v3, v1, v2 offset0:120 offset1:220
	s_waitcnt vmcnt(0)
	v_lshrrev_b32_e32 v1, 16, v0
	v_mul_f16_sdwa v2, v30, v1 dst_sel:DWORD dst_unused:UNUSED_PAD src0_sel:WORD_1 src1_sel:DWORD
	v_fma_f16 v2, v30, v0, v2
	v_mul_f16_sdwa v0, v30, v0 dst_sel:DWORD dst_unused:UNUSED_PAD src0_sel:WORD_1 src1_sel:DWORD
	v_fma_f16 v0, v30, v1, -v0
	v_pack_b32_f16 v0, v2, v0
	ds_write_b32 v16, v0 offset:6400
.LBB0_3:
	s_or_b64 exec, exec, s[8:9]
	s_load_dwordx2 s[6:7], s[0:1], 0x20
	s_load_dwordx2 s[4:5], s[0:1], 0x8
	v_mov_b32_e32 v0, 0
	s_waitcnt lgkmcnt(0)
	s_barrier
	s_waitcnt lgkmcnt(0)
                                        ; implicit-def: $vgpr3
                                        ; implicit-def: $vgpr17
                                        ; implicit-def: $vgpr8
                                        ; implicit-def: $vgpr26
                                        ; implicit-def: $vgpr34
                                        ; implicit-def: $vgpr12
                                        ; implicit-def: $vgpr45
                                        ; implicit-def: $vgpr46
                                        ; implicit-def: $vgpr14
                                        ; implicit-def: $vgpr47
                                        ; implicit-def: $vgpr48
                                        ; implicit-def: $vgpr50
                                        ; implicit-def: $vgpr49
                                        ; implicit-def: $vgpr32
                                        ; implicit-def: $vgpr11
                                        ; implicit-def: $vgpr33
                                        ; implicit-def: $vgpr35
                                        ; implicit-def: $vgpr7
                                        ; implicit-def: $vgpr27
                                        ; implicit-def: $vgpr28
                                        ; implicit-def: $vgpr5
                                        ; implicit-def: $vgpr29
                                        ; implicit-def: $vgpr30
                                        ; implicit-def: $vgpr31
	s_and_saveexec_b64 s[0:1], s[2:3]
	s_cbranch_execz .LBB0_5
; %bb.4:
	v_add_u32_e32 v2, 0x200, v16
	ds_read2_b32 v[4:5], v2 offset0:72 offset1:172
	v_add_u32_e32 v2, 0x400, v16
	ds_read2_b32 v[6:7], v2 offset0:144 offset1:244
	;; [unrolled: 2-line block ×3, first 2 shown]
	v_add_u32_e32 v2, 0xc00, v16
	v_add_u32_e32 v8, 0xe00, v16
	;; [unrolled: 1-line block ×4, first 2 shown]
	ds_read2_b32 v[0:1], v16 offset1:100
	ds_read2_b32 v[2:3], v2 offset0:32 offset1:132
	ds_read2_b32 v[8:9], v8 offset0:104 offset1:204
	;; [unrolled: 1-line block ×4, first 2 shown]
	ds_read_b32 v50, v16 offset:6400
	s_waitcnt lgkmcnt(5)
	v_lshrrev_b32_e32 v31, 16, v1
	v_lshrrev_b32_e32 v30, 16, v4
	;; [unrolled: 1-line block ×7, first 2 shown]
	s_waitcnt lgkmcnt(4)
	v_lshrrev_b32_e32 v32, 16, v2
	v_lshrrev_b32_e32 v17, 16, v3
	s_waitcnt lgkmcnt(3)
	v_lshrrev_b32_e32 v26, 16, v8
	v_lshrrev_b32_e32 v34, 16, v9
	s_waitcnt lgkmcnt(2)
	v_lshrrev_b32_e32 v45, 16, v12
	v_lshrrev_b32_e32 v46, 16, v13
	s_waitcnt lgkmcnt(1)
	v_lshrrev_b32_e32 v47, 16, v14
	v_lshrrev_b32_e32 v48, 16, v15
	s_waitcnt lgkmcnt(0)
	v_lshrrev_b32_e32 v49, 16, v50
.LBB0_5:
	s_or_b64 exec, exec, s[0:1]
	v_sub_f16_e32 v70, v31, v49
	v_add_f16_e32 v51, v50, v1
	s_movk_i32 s9, 0x39e9
	v_mul_f16_e32 v54, 0xb964, v70
	v_sub_f16_e32 v73, v30, v48
	v_fma_f16 v20, v51, s9, v54
	s_movk_i32 s10, 0x3722
	v_mul_f16_e32 v56, 0xbb29, v70
	s_movk_i32 s11, 0x2de8
	v_add_f16_e32 v52, v15, v4
	v_mul_f16_e32 v57, 0xbbf7, v73
	v_add_f16_e32 v20, v20, v0
	v_fma_f16 v21, v51, s10, v56
	s_mov_b32 s17, 0xb8d2
	v_fma_f16 v22, v52, s11, v57
	v_mul_f16_e32 v59, 0xba62, v73
	v_sub_f16_e32 v76, v29, v47
	v_add_f16_e32 v21, v21, v0
	v_add_f16_e32 v20, v22, v20
	v_fma_f16 v22, v52, s17, v59
	v_add_f16_e32 v53, v14, v5
	v_mul_f16_e32 v60, 0xba62, v76
	v_add_f16_e32 v21, v22, v21
	s_mov_b32 s19, 0xbbdd
	v_fma_f16 v22, v53, s17, v60
	v_mul_f16_e32 v62, 0x31e1, v76
	v_sub_f16_e32 v80, v28, v46
	v_add_f16_e32 v20, v22, v20
	v_fma_f16 v22, v53, s19, v62
	v_add_f16_e32 v55, v13, v6
	v_mul_f16_e32 v63, 0xb1e1, v80
	s_mov_b32 s16, 0xb461
	v_add_f16_e32 v21, v22, v21
	v_fma_f16 v22, v55, s19, v63
	v_mul_f16_e32 v65, 0x3bb2, v80
	v_sub_f16_e32 v91, v27, v45
	s_mov_b32 s18, 0xbacd
	v_add_f16_e32 v20, v22, v20
	v_fma_f16 v22, v55, s16, v65
	v_add_f16_e32 v58, v12, v7
	v_mul_f16_e32 v66, 0x3836, v91
	v_add_f16_e32 v21, v22, v21
	v_fma_f16 v22, v58, s18, v66
	v_mul_f16_e32 v68, 0x3964, v91
	v_sub_f16_e32 v106, v35, v34
	v_add_f16_e32 v20, v22, v20
	v_fma_f16 v22, v58, s9, v68
	v_add_f16_e32 v61, v9, v10
	v_mul_f16_e32 v69, 0x3bb2, v106
	s_movk_i32 s8, 0x3b76
	v_add_f16_e32 v21, v22, v21
	v_fma_f16 v22, v61, s16, v69
	v_mul_f16_e32 v71, 0xb5c8, v106
	v_sub_f16_e32 v116, v33, v26
	v_add_f16_e32 v20, v22, v20
	v_fma_f16 v22, v61, s8, v71
	v_add_f16_e32 v64, v8, v11
	v_mul_f16_e32 v72, 0x3b29, v116
	v_add_f16_e32 v21, v22, v21
	v_fma_f16 v22, v64, s10, v72
	v_mul_f16_e32 v74, 0xbbf7, v116
	v_sub_f16_e32 v136, v32, v17
	v_add_f16_e32 v20, v22, v20
	v_fma_f16 v22, v64, s11, v74
	v_add_f16_e32 v67, v3, v2
	v_mul_f16_e32 v75, 0x35c8, v136
	v_add_f16_e32 v22, v22, v21
	v_fma_f16 v21, v67, s8, v75
	v_mul_f16_e32 v77, 0xb836, v136
	v_add_f16_e32 v21, v21, v20
	v_fma_f16 v20, v67, s18, v77
	;; [unrolled: 3-line block ×35, first 2 shown]
	v_mul_f16_e32 v86, 0xb964, v73
	v_sub_f16_e32 v177, v1, v50
	v_add_f16_e32 v36, v36, v0
	v_fma_f16 v37, v52, s9, v86
	v_add_f16_e32 v78, v49, v31
	v_mul_f16_e32 v93, 0xb5c8, v177
	v_sub_f16_e32 v178, v4, v15
	v_add_f16_e32 v36, v37, v36
	v_fma_f16 v37, v78, s8, -v93
	v_add_f16_e32 v79, v48, v30
	v_mul_f16_e32 v95, 0xb964, v178
	v_add_f16_sdwa v37, v37, v0 dst_sel:DWORD dst_unused:UNUSED_PAD src0_sel:DWORD src1_sel:WORD_1
	v_fma_f16 v38, v79, s9, -v95
	v_mul_f16_e32 v107, 0xb964, v177
	v_add_f16_e32 v37, v38, v37
	v_fma_f16 v38, v78, s9, -v107
	v_mul_f16_e32 v108, 0xbbf7, v178
	v_add_f16_sdwa v38, v38, v0 dst_sel:DWORD dst_unused:UNUSED_PAD src0_sel:DWORD src1_sel:WORD_1
	v_fma_f16 v39, v79, s11, -v108
	v_mul_f16_e32 v115, 0xbb29, v177
	v_add_f16_e32 v38, v39, v38
	v_fma_f16 v39, v78, s10, -v115
	;; [unrolled: 6-line block ×6, first 2 shown]
	v_mul_f16_e32 v176, 0x3b29, v178
	v_add_f16_sdwa v43, v43, v0 dst_sel:DWORD dst_unused:UNUSED_PAD src0_sel:DWORD src1_sel:WORD_1
	v_fma_f16 v44, v79, s10, -v176
	v_mul_f16_e32 v103, 0xbb29, v76
	v_sub_f16_e32 v184, v5, v14
	v_add_f16_e32 v43, v44, v43
	v_fma_f16 v44, v53, s10, v103
	v_add_f16_e32 v87, v47, v29
	v_mul_f16_e32 v109, 0xbb29, v184
	v_add_f16_e32 v36, v44, v36
	v_fma_f16 v44, v87, s10, -v109
	v_mul_f16_e32 v118, 0xba62, v184
	v_add_f16_e32 v37, v44, v37
	v_fma_f16 v44, v87, s17, -v118
	v_mul_f16_e32 v131, 0x31e1, v184
	v_add_f16_e32 v38, v44, v38
	v_fma_f16 v44, v87, s19, -v131
	v_mul_f16_e32 v141, 0x3bb2, v184
	v_add_f16_e32 v39, v44, v39
	v_fma_f16 v44, v87, s16, -v141
	v_mul_f16_e32 v157, 0x3964, v184
	v_add_f16_e32 v40, v44, v40
	v_fma_f16 v44, v87, s9, -v157
	v_mul_f16_e32 v168, 0xb5c8, v184
	v_add_f16_e32 v41, v44, v41
	v_fma_f16 v44, v87, s8, -v168
	v_mul_f16_e32 v181, 0xbbf7, v184
	v_add_f16_e32 v42, v44, v42
	v_fma_f16 v44, v87, s11, -v181
	v_mul_f16_e32 v110, 0xbbf7, v80
	v_sub_f16_e32 v187, v6, v13
	v_add_f16_e32 v43, v44, v43
	v_fma_f16 v44, v55, s11, v110
	v_add_f16_e32 v97, v46, v28
	v_mul_f16_e32 v112, 0xbbf7, v187
	v_add_f16_e32 v36, v44, v36
	v_fma_f16 v44, v97, s11, -v112
	v_mul_f16_e32 v128, 0xb1e1, v187
	v_add_f16_e32 v37, v44, v37
	v_fma_f16 v44, v97, s19, -v128
	v_mul_f16_e32 v138, 0x3bb2, v187
	v_add_f16_e32 v38, v44, v38
	v_fma_f16 v44, v97, s16, -v138
	v_mul_f16_e32 v154, 0x35c8, v187
	v_add_f16_e32 v39, v44, v39
	v_fma_f16 v44, v97, s8, -v154
	v_mul_f16_e32 v161, 0xbb29, v187
	v_add_f16_e32 v40, v44, v40
	v_fma_f16 v44, v97, s10, -v161
	v_mul_f16_e32 v171, 0xb836, v187
	v_add_f16_e32 v41, v44, v41
	v_fma_f16 v44, v97, s18, -v171
	v_mul_f16_e32 v183, 0x3a62, v187
	v_add_f16_e32 v42, v44, v42
	;; [unrolled: 26-line block ×5, first 2 shown]
	v_fma_f16 v38, v114, s9, -v190
	v_mul_f16_e32 v140, 0xb1e1, v136
	v_sub_f16_e32 v194, v2, v3
	v_add_f16_e32 v195, v38, v43
	v_fma_f16 v38, v67, s19, v140
	v_add_f16_e32 v125, v17, v32
	v_mul_f16_e32 v150, 0xb1e1, v194
	v_add_f16_e32 v41, v38, v36
	v_fma_f16 v36, v125, s19, -v150
	v_mul_f16_e32 v160, 0x35c8, v194
	v_add_f16_e32 v38, v36, v37
	v_fma_f16 v36, v125, s8, -v160
	;; [unrolled: 3-line block ×3, first 2 shown]
	v_add_f16_e32 v40, v36, v172
	v_mul_f16_e32 v172, 0x3964, v194
	v_fma_f16 v36, v125, s9, -v172
	v_add_f16_e32 v43, v36, v179
	v_mul_f16_e32 v179, 0xba62, v194
	v_fma_f16 v36, v125, s17, -v179
	;; [unrolled: 3-line block ×3, first 2 shown]
	v_mul_f16_e32 v192, 0xbbb2, v194
	v_add_f16_e32 v42, v36, v42
	v_fma_f16 v36, v125, s16, -v192
	v_add_f16_e32 v37, v36, v195
	v_mul_lo_u16_e32 v36, 17, v19
	s_barrier
	s_and_saveexec_b64 s[0:1], s[2:3]
	s_cbranch_execz .LBB0_7
; %bb.6:
	v_mul_f16_e32 v208, 0xbacd, v78
	v_mul_f16_e32 v222, 0x3722, v79
	v_add_f16_e32 v175, v175, v208
	v_mul_f16_e32 v236, 0x2de8, v87
	v_add_f16_e32 v176, v176, v222
	v_add_f16_sdwa v175, v175, v0 dst_sel:DWORD dst_unused:UNUSED_PAD src0_sel:DWORD src1_sel:WORD_1
	v_mul_f16_e32 v250, 0xb8d2, v97
	v_add_f16_e32 v175, v176, v175
	v_add_f16_e32 v181, v181, v236
	;; [unrolled: 1-line block ×5, first 2 shown]
	v_mul_f16_e32 v183, 0x3b76, v104
	v_add_f16_e32 v183, v186, v183
	v_mul_f16_e32 v177, 0xb1e1, v177
	v_add_f16_e32 v175, v183, v175
	v_mul_f16_e32 v183, 0xbbdd, v111
	v_fma_f16 v252, v78, s19, v177
	v_mul_f16_e32 v178, 0x35c8, v178
	v_add_f16_e32 v183, v188, v183
	v_mul_f16_e32 v207, 0xbacd, v51
	v_add_f16_sdwa v252, v252, v0 dst_sel:DWORD dst_unused:UNUSED_PAD src0_sel:DWORD src1_sel:WORD_1
	v_fma_f16 v253, v79, s8, v178
	v_mul_f16_e32 v184, 0xb836, v184
	v_add_f16_e32 v175, v183, v175
	v_mul_f16_e32 v183, 0x39e9, v114
	v_mul_f16_e32 v221, 0x3722, v52
	v_add_f16_e32 v252, v253, v252
	v_fma_f16 v253, v87, s18, v184
	v_mul_f16_e32 v187, 0x3964, v187
	v_add_f16_e32 v183, v190, v183
	v_sub_f16_e32 v145, v207, v145
	v_mul_f16_e32 v235, 0x2de8, v53
	v_add_f16_e32 v252, v253, v252
	v_fma_f16 v253, v97, s9, v187
	v_mul_f16_e32 v189, 0xba62, v189
	v_add_f16_e32 v175, v183, v175
	v_mul_f16_e32 v183, 0xb461, v125
	v_sub_f16_e32 v146, v221, v146
	v_add_f16_e32 v145, v145, v0
	v_mul_f16_e32 v197, 0x39e9, v51
	v_mul_f16_e32 v249, 0xb8d2, v55
	v_add_f16_e32 v252, v253, v252
	v_fma_f16 v253, v104, s17, v189
	v_mul_f16_e32 v191, 0x3b29, v191
	v_add_f16_e32 v183, v192, v183
	v_add_f16_e32 v145, v146, v145
	v_sub_f16_e32 v147, v235, v147
	v_mul_f16_e32 v199, 0x3722, v51
	v_mul_f16_e32 v211, 0x2de8, v52
	v_add_f16_e32 v252, v253, v252
	v_fma_f16 v253, v111, s10, v191
	v_mul_f16_e32 v193, 0xbbb2, v193
	v_add_f16_e32 v175, v183, v175
	v_mul_f16_e32 v183, 0x3b76, v58
	v_add_f16_e32 v145, v147, v145
	v_sub_f16_e32 v149, v249, v149
	v_sub_f16_e32 v54, v197, v54
	v_mul_f16_e32 v213, 0xb8d2, v52
	v_mul_f16_e32 v225, 0xb8d2, v53
	v_add_f16_e32 v252, v253, v252
	v_fma_f16 v253, v114, s16, v193
	v_mul_f16_e32 v194, 0x3bf7, v194
	v_add_f16_e32 v145, v149, v145
	v_sub_f16_e32 v151, v183, v151
	v_sub_f16_e32 v56, v199, v56
	v_add_f16_e32 v54, v54, v0
	v_sub_f16_e32 v57, v211, v57
	v_add_f16_e32 v1, v1, v0
	v_mul_f16_e32 v206, 0xb8d2, v78
	v_mul_f16_e32 v227, 0xbbdd, v53
	;; [unrolled: 1-line block ×3, first 2 shown]
	v_add_f16_e32 v252, v253, v252
	v_fma_f16 v253, v125, s11, v194
	v_mul_f16_e32 v70, 0xb1e1, v70
	v_add_f16_e32 v145, v151, v145
	v_mul_f16_e32 v151, 0xbbdd, v61
	v_add_f16_e32 v56, v56, v0
	v_sub_f16_e32 v59, v213, v59
	v_add_f16_e32 v54, v57, v54
	v_sub_f16_e32 v57, v225, v60
	v_add_f16_e32 v1, v4, v1
	v_mul_f16_e32 v220, 0xb461, v79
	v_mul_f16_e32 v241, 0xb461, v55
	v_add_f16_e32 v252, v253, v252
	v_fma_f16 v253, v51, s19, -v70
	v_mul_f16_e32 v73, 0x35c8, v73
	v_mul_f16_e32 v208, 0xbacd, v58
	v_sub_f16_e32 v151, v151, v152
	v_add_f16_e32 v163, v163, v206
	v_add_f16_e32 v56, v59, v56
	v_sub_f16_e32 v59, v227, v62
	v_add_f16_e32 v54, v57, v54
	v_sub_f16_e32 v57, v239, v63
	v_add_f16_e32 v1, v5, v1
	v_mul_f16_e32 v205, 0xb8d2, v51
	v_mul_f16_e32 v234, 0x3b76, v87
	v_add_f16_e32 v253, v253, v0
	v_fma_f16 v254, v52, s8, -v73
	v_mul_f16_e32 v76, 0xb836, v76
	v_mul_f16_e32 v176, 0x39e9, v58
	;; [unrolled: 1-line block ×3, first 2 shown]
	v_add_f16_e32 v145, v151, v145
	v_mul_f16_e32 v151, 0x39e9, v64
	v_add_f16_e32 v164, v164, v220
	v_add_f16_sdwa v163, v163, v0 dst_sel:DWORD dst_unused:UNUSED_PAD src0_sel:DWORD src1_sel:WORD_1
	v_add_f16_e32 v56, v59, v56
	v_sub_f16_e32 v59, v241, v65
	v_add_f16_e32 v54, v57, v54
	v_sub_f16_e32 v57, v208, v66
	v_add_f16_e32 v1, v6, v1
	v_mul_f16_e32 v219, 0xb461, v52
	v_add_f16_e32 v253, v254, v253
	v_fma_f16 v254, v53, s18, -v76
	v_mul_f16_e32 v80, 0x3964, v80
	v_mul_f16_e32 v147, 0x3b76, v61
	v_sub_f16_e32 v151, v151, v153
	v_add_f16_e32 v163, v164, v163
	v_mul_f16_e32 v164, 0x3722, v64
	v_add_f16_e32 v168, v168, v234
	v_sub_f16_e32 v119, v205, v119
	v_add_f16_e32 v56, v59, v56
	v_sub_f16_e32 v59, v176, v68
	v_add_f16_e32 v54, v57, v54
	v_sub_f16_e32 v57, v146, v69
	v_add_f16_e32 v1, v7, v1
	v_mul_f16_e32 v248, 0xbacd, v97
	v_add_f16_e32 v253, v254, v253
	v_fma_f16 v254, v55, s9, -v80
	v_mul_f16_e32 v91, 0xba62, v91
	v_add_f16_e32 v145, v151, v145
	v_mul_f16_e32 v151, 0xb461, v67
	v_add_f16_e32 v163, v168, v163
	v_mul_f16_e32 v168, 0x2de8, v64
	v_mul_f16_e32 v205, 0x3b76, v67
	v_sub_f16_e32 v120, v219, v120
	v_add_f16_e32 v119, v119, v0
	v_add_f16_e32 v56, v59, v56
	v_sub_f16_e32 v59, v147, v71
	v_add_f16_e32 v54, v57, v54
	v_sub_f16_e32 v57, v164, v72
	v_add_f16_e32 v1, v10, v1
	v_mul_f16_e32 v196, 0x3b76, v78
	v_add_f16_e32 v253, v254, v253
	v_fma_f16 v254, v58, s17, -v91
	v_mul_f16_e32 v106, 0x3b29, v106
	v_mul_f16_e32 v192, 0x2de8, v104
	v_sub_f16_e32 v151, v151, v156
	v_add_f16_e32 v171, v171, v248
	v_add_f16_e32 v119, v120, v119
	v_mul_f16_e32 v120, 0xbacd, v67
	v_add_f16_e32 v56, v59, v56
	v_sub_f16_e32 v59, v168, v74
	v_add_f16_e32 v54, v57, v54
	v_sub_f16_e32 v57, v205, v75
	v_add_f16_e32 v1, v11, v1
	v_mul_f16_e32 v198, 0x39e9, v78
	v_mul_f16_e32 v201, 0x2de8, v51
	;; [unrolled: 1-line block ×4, first 2 shown]
	v_add_f16_e32 v253, v254, v253
	v_fma_f16 v254, v61, s10, -v106
	v_mul_f16_e32 v116, 0xbbb2, v116
	v_add_f16_e32 v145, v151, v145
	v_mul_f16_e32 v151, 0x39e9, v111
	v_add_f16_e32 v163, v171, v163
	v_add_f16_e32 v174, v174, v192
	;; [unrolled: 1-line block ×3, first 2 shown]
	v_sub_f16_e32 v59, v120, v77
	v_add_f16_e32 v54, v57, v54
	v_add_f16_e32 v57, v93, v196
	;; [unrolled: 1-line block ×3, first 2 shown]
	v_mul_f16_e32 v212, 0x2de8, v79
	v_mul_f16_e32 v215, 0xbbdd, v52
	;; [unrolled: 1-line block ×4, first 2 shown]
	v_add_f16_e32 v253, v254, v253
	v_fma_f16 v254, v64, s16, -v116
	v_mul_f16_e32 v136, 0x3bf7, v136
	v_add_f16_e32 v163, v174, v163
	v_add_f16_e32 v151, v180, v151
	v_sub_f16_e32 v94, v203, v94
	v_sub_f16_e32 v81, v201, v81
	v_add_f16_e32 v56, v59, v56
	v_add_f16_e32 v59, v107, v198
	v_add_f16_sdwa v57, v57, v0 dst_sel:DWORD dst_unused:UNUSED_PAD src0_sel:DWORD src1_sel:WORD_1
	v_add_f16_e32 v60, v95, v210
	v_add_f16_e32 v1, v3, v1
	v_add_f16_sdwa v2, v31, v0 dst_sel:DWORD dst_unused:UNUSED_PAD src0_sel:DWORD src1_sel:WORD_1
	v_fma_f16 v3, v78, s19, -v177
	v_mul_f16_e32 v226, 0xb8d2, v87
	v_mul_f16_e32 v229, 0xb461, v53
	;; [unrolled: 1-line block ×5, first 2 shown]
	v_add_f16_e32 v253, v254, v253
	v_fma_f16 v254, v67, s11, -v136
	v_add_f16_e32 v151, v151, v163
	v_mul_f16_e32 v163, 0xbbdd, v114
	v_add_f16_e32 v94, v94, v0
	v_sub_f16_e32 v96, v217, v96
	v_add_f16_e32 v81, v81, v0
	v_sub_f16_e32 v82, v215, v82
	v_add_f16_sdwa v59, v59, v0 dst_sel:DWORD dst_unused:UNUSED_PAD src0_sel:DWORD src1_sel:WORD_1
	v_add_f16_e32 v62, v108, v212
	v_add_f16_e32 v57, v60, v57
	;; [unrolled: 1-line block ×4, first 2 shown]
	v_add_f16_sdwa v3, v3, v0 dst_sel:DWORD dst_unused:UNUSED_PAD src0_sel:DWORD src1_sel:WORD_1
	v_fma_f16 v4, v79, s8, -v178
	v_mul_f16_e32 v240, 0xbbdd, v97
	v_mul_f16_e32 v243, 0x3b76, v55
	;; [unrolled: 1-line block ×4, first 2 shown]
	v_add_f16_e32 v253, v254, v253
	v_mul_f16_e32 v254, 0xb461, v104
	v_add_f16_e32 v163, v182, v163
	v_sub_f16_e32 v122, v233, v122
	v_add_f16_e32 v94, v96, v94
	v_sub_f16_e32 v96, v231, v98
	;; [unrolled: 2-line block ×3, first 2 shown]
	v_add_f16_e32 v59, v62, v59
	v_add_f16_e32 v62, v118, v226
	;; [unrolled: 1-line block ×6, first 2 shown]
	v_fma_f16 v4, v87, s18, -v184
	v_mul_f16_e32 v222, 0xbacd, v104
	v_mul_f16_e32 v181, 0x3722, v58
	;; [unrolled: 1-line block ×5, first 2 shown]
	v_add_f16_e32 v151, v163, v151
	v_mul_f16_e32 v163, 0x3722, v125
	v_add_f16_e32 v119, v122, v119
	v_sub_f16_e32 v124, v247, v124
	v_add_f16_e32 v94, v96, v94
	v_sub_f16_e32 v96, v245, v99
	;; [unrolled: 2-line block ×3, first 2 shown]
	v_add_f16_e32 v59, v62, v59
	v_add_f16_e32 v62, v128, v240
	;; [unrolled: 1-line block ×6, first 2 shown]
	v_fma_f16 v4, v97, s9, -v187
	v_mul_f16_e32 v235, 0xb461, v111
	v_mul_f16_e32 v149, 0xbacd, v61
	;; [unrolled: 1-line block ×5, first 2 shown]
	v_add_f16_e32 v163, v185, v163
	v_add_f16_e32 v119, v124, v119
	v_sub_f16_e32 v126, v190, v126
	v_add_f16_e32 v94, v96, v94
	v_sub_f16_e32 v96, v186, v100
	;; [unrolled: 2-line block ×3, first 2 shown]
	v_add_f16_e32 v59, v62, v59
	v_add_f16_e32 v62, v137, v222
	;; [unrolled: 1-line block ×6, first 2 shown]
	v_fma_f16 v4, v104, s17, -v189
	v_mul_f16_e32 v234, 0x3722, v114
	v_mul_f16_e32 v171, 0xb8d2, v64
	;; [unrolled: 1-line block ×4, first 2 shown]
	v_add_f16_e32 v151, v163, v151
	v_mul_f16_e32 v163, 0xbbdd, v125
	v_add_f16_e32 v119, v126, v119
	v_sub_f16_e32 v127, v156, v127
	v_add_f16_e32 v94, v96, v94
	v_sub_f16_e32 v96, v152, v101
	;; [unrolled: 2-line block ×3, first 2 shown]
	v_add_f16_e32 v59, v62, v59
	v_add_f16_e32 v62, v142, v235
	;; [unrolled: 1-line block ×6, first 2 shown]
	v_fma_f16 v4, v111, s10, -v191
	v_mul_f16_e32 v195, 0x3b76, v51
	v_mul_f16_e32 v219, 0x3b76, v125
	v_mul_f16_e32 v122, 0x39e9, v67
	v_mul_f16_e32 v124, 0xb8d2, v67
	v_mul_f16_e32 v126, 0x3722, v67
	v_add_f16_e32 v119, v127, v119
	v_sub_f16_e32 v127, v182, v129
	v_add_f16_e32 v94, v96, v94
	v_sub_f16_e32 v96, v174, v102
	;; [unrolled: 2-line block ×3, first 2 shown]
	v_add_f16_e32 v59, v62, v59
	v_add_f16_e32 v62, v155, v234
	;; [unrolled: 1-line block ×6, first 2 shown]
	v_fma_f16 v4, v114, s16, -v193
	v_mul_f16_e32 v200, 0x3722, v78
	v_mul_f16_e32 v202, 0x2de8, v78
	;; [unrolled: 1-line block ×4, first 2 shown]
	v_add_f16_e32 v119, v127, v119
	v_sub_f16_e32 v126, v126, v130
	v_add_f16_e32 v94, v96, v94
	v_sub_f16_e32 v96, v124, v105
	v_add_f16_e32 v81, v82, v81
	v_sub_f16_e32 v82, v122, v92
	v_add_f16_e32 v59, v62, v59
	v_add_f16_e32 v62, v160, v219
	;; [unrolled: 1-line block ×3, first 2 shown]
	v_sub_f16_e32 v60, v195, v84
	v_add_f16_e32 v2, v32, v2
	v_add_f16_e32 v3, v4, v3
	v_fma_f16 v4, v125, s11, -v194
	v_mul_f16_e32 v214, 0xb8d2, v79
	v_mul_f16_e32 v223, 0x3722, v53
	v_add_f16_e32 v119, v126, v119
	v_add_f16_e32 v126, v143, v204
	;; [unrolled: 1-line block ×8, first 2 shown]
	v_sub_f16_e32 v62, v209, v86
	v_add_f16_e32 v2, v17, v2
	v_add_f16_e32 v3, v4, v3
	v_fma_f16 v4, v51, s19, v70
	v_mul_f16_e32 v216, 0xbbdd, v79
	v_mul_f16_e32 v218, 0xbacd, v79
	;; [unrolled: 1-line block ×4, first 2 shown]
	v_add_f16_sdwa v126, v126, v0 dst_sel:DWORD dst_unused:UNUSED_PAD src0_sel:DWORD src1_sel:WORD_1
	v_add_f16_sdwa v96, v96, v0 dst_sel:DWORD dst_unused:UNUSED_PAD src0_sel:DWORD src1_sel:WORD_1
	;; [unrolled: 1-line block ×3, first 2 shown]
	v_add_f16_e32 v83, v117, v214
	v_add_f16_e32 v60, v62, v60
	v_sub_f16_e32 v62, v223, v103
	v_add_f16_e32 v1, v8, v1
	v_add_f16_e32 v2, v26, v2
	;; [unrolled: 1-line block ×3, first 2 shown]
	v_fma_f16 v4, v52, s8, v73
	v_mul_f16_e32 v230, 0xb461, v87
	v_mul_f16_e32 v232, 0x39e9, v87
	;; [unrolled: 1-line block ×4, first 2 shown]
	v_add_f16_e32 v127, v144, v218
	v_add_f16_e32 v98, v133, v216
	v_add_f16_e32 v82, v83, v82
	v_add_f16_e32 v83, v131, v228
	v_add_f16_e32 v60, v62, v60
	v_sub_f16_e32 v62, v237, v110
	v_add_f16_e32 v1, v9, v1
	v_add_f16_e32 v2, v34, v2
	v_add_f16_e32 v0, v4, v0
	v_fma_f16 v4, v53, s18, v76
	v_mul_f16_e32 v244, 0x3b76, v97
	v_mul_f16_e32 v246, 0x3722, v97
	v_mul_f16_e32 v236, 0x39e9, v104
	v_mul_f16_e32 v207, 0xb8d2, v61
	v_add_f16_e32 v126, v127, v126
	v_add_f16_e32 v127, v157, v232
	v_add_f16_e32 v96, v98, v96
	v_add_f16_e32 v98, v141, v230
	v_add_f16_e32 v82, v83, v82
	v_add_f16_e32 v83, v138, v242
	v_add_f16_e32 v60, v62, v60
	v_sub_f16_e32 v62, v251, v113
	v_add_f16_e32 v1, v12, v1
	v_add_f16_e32 v2, v45, v2
	v_add_f16_e32 v0, v4, v0
	v_fma_f16 v4, v55, s9, v80
	v_mul_f16_e32 v250, 0x3722, v104
	v_mul_f16_e32 v188, 0xbbdd, v104
	v_mul_f16_e32 v249, 0x3b76, v111
	v_mul_f16_e32 v206, 0xbacd, v64
	v_add_f16_e32 v126, v127, v126
	v_add_f16_e32 v127, v161, v246
	;; [unrolled: 16-line block ×3, first 2 shown]
	v_add_f16_e32 v96, v98, v96
	v_add_f16_e32 v98, v159, v250
	;; [unrolled: 1-line block ×5, first 2 shown]
	v_sub_f16_e32 v62, v206, v135
	v_add_f16_e32 v1, v14, v1
	v_add_f16_e32 v2, v47, v2
	v_add_f16_e32 v0, v4, v0
	v_fma_f16 v4, v61, s10, v106
	v_mul_f16_e32 v192, 0xb8d2, v114
	v_mul_f16_e32 v180, 0x3b76, v114
	v_mul_f16_e32 v233, 0xbacd, v125
	v_add_f16_e32 v126, v127, v126
	v_add_f16_e32 v127, v170, v153
	;; [unrolled: 1-line block ×7, first 2 shown]
	v_sub_f16_e32 v62, v185, v140
	v_add_f16_e32 v1, v15, v1
	v_add_f16_e32 v2, v48, v2
	;; [unrolled: 1-line block ×3, first 2 shown]
	v_fma_f16 v4, v64, s16, v116
	v_mul_f16_e32 v247, 0x39e9, v125
	v_mul_f16_e32 v190, 0xb8d2, v125
	v_add_f16_e32 v126, v127, v126
	v_add_f16_e32 v127, v173, v180
	;; [unrolled: 1-line block ×10, first 2 shown]
	v_fma_f16 v4, v67, s11, v136
	v_add_f16_e32 v126, v127, v126
	v_add_f16_e32 v127, v179, v190
	;; [unrolled: 1-line block ×6, first 2 shown]
	v_lshlrev_b32_e32 v4, 2, v36
	v_pack_b32_f16 v5, v60, v57
	v_pack_b32_f16 v1, v1, v2
	v_add_f16_e32 v126, v127, v126
	v_add_f16_e32 v96, v98, v96
	ds_write2_b32 v4, v1, v5 offset1:1
	v_pack_b32_f16 v1, v56, v82
	v_pack_b32_f16 v2, v54, v59
	ds_write2_b32 v4, v2, v1 offset0:2 offset1:3
	v_pack_b32_f16 v1, v94, v126
	v_pack_b32_f16 v2, v81, v96
	ds_write2_b32 v4, v2, v1 offset0:4 offset1:5
	;; [unrolled: 3-line block ×3, first 2 shown]
	v_pack_b32_f16 v0, v0, v3
	v_pack_b32_f16 v1, v253, v252
	s_mov_b32 s8, 0x5040100
	ds_write2_b32 v4, v1, v0 offset0:8 offset1:9
	v_perm_b32 v0, v42, v25, s8
	v_perm_b32 v1, v37, v24, s8
	ds_write2_b32 v4, v1, v0 offset0:10 offset1:11
	v_perm_b32 v0, v43, v23, s8
	v_perm_b32 v1, v44, v22, s8
	;; [unrolled: 3-line block ×3, first 2 shown]
	ds_write2_b32 v4, v1, v0 offset0:14 offset1:15
	v_perm_b32 v0, v38, v41, s8
	ds_write_b32 v4, v0 offset:64
.LBB0_7:
	s_or_b64 exec, exec, s[0:1]
	s_movk_i32 s0, 0xf1
	v_mul_lo_u16_sdwa v0, v19, s0 dst_sel:DWORD dst_unused:UNUSED_PAD src0_sel:BYTE_0 src1_sel:DWORD
	v_lshrrev_b16_e32 v28, 12, v0
	v_mul_lo_u16_e32 v0, 17, v28
	v_sub_u16_e32 v0, v19, v0
	v_and_b32_e32 v29, 0xff, v0
	v_mad_u64_u32 v[8:9], s[0:1], v29, 36, s[4:5]
	s_load_dwordx4 s[8:11], s[6:7], 0x0
	s_waitcnt lgkmcnt(0)
	s_barrier
	global_load_dwordx4 v[0:3], v[8:9], off
	global_load_dwordx4 v[4:7], v[8:9], off offset:16
	global_load_dword v45, v[8:9], off offset:32
	v_add_u32_e32 v59, 0x400, v16
	ds_read2_b32 v[8:9], v16 offset1:170
	v_add_u32_e32 v60, 0xa00, v16
	v_add_u32_e32 v17, 0xf00, v16
	;; [unrolled: 1-line block ×3, first 2 shown]
	ds_read2_b32 v[10:11], v59 offset0:84 offset1:254
	ds_read2_b32 v[12:13], v60 offset0:40 offset1:210
	ds_read2_b32 v[14:15], v17 offset0:60 offset1:230
	ds_read2_b32 v[26:27], v58 offset0:80 offset1:250
	s_waitcnt lgkmcnt(4)
	v_lshrrev_b32_e32 v31, 16, v9
	s_waitcnt lgkmcnt(3)
	v_lshrrev_b32_e32 v32, 16, v10
	;; [unrolled: 2-line block ×5, first 2 shown]
	v_lshrrev_b32_e32 v33, 16, v11
	s_movk_i32 s7, 0x3b9c
	s_mov_b32 s1, 0xbb9c
	s_movk_i32 s16, 0x38b4
	s_mov_b32 s0, 0xb8b4
	s_movk_i32 s6, 0x34f2
	v_lshrrev_b32_e32 v30, 16, v8
	v_lshrrev_b32_e32 v35, 16, v13
	;; [unrolled: 1-line block ×4, first 2 shown]
	s_movk_i32 s17, 0x3a79
	s_barrier
	s_waitcnt vmcnt(2)
	v_mul_f16_sdwa v56, v34, v3 dst_sel:DWORD dst_unused:UNUSED_PAD src0_sel:DWORD src1_sel:WORD_1
	s_waitcnt vmcnt(1)
	v_mul_f16_sdwa v63, v46, v5 dst_sel:DWORD dst_unused:UNUSED_PAD src0_sel:DWORD src1_sel:WORD_1
	v_mul_f16_sdwa v51, v9, v0 dst_sel:DWORD dst_unused:UNUSED_PAD src0_sel:DWORD src1_sel:WORD_1
	;; [unrolled: 1-line block ×8, first 2 shown]
	v_fma_f16 v12, v12, v3, -v56
	v_fma_f16 v14, v14, v5, -v63
	v_mul_f16_sdwa v50, v31, v0 dst_sel:DWORD dst_unused:UNUSED_PAD src0_sel:DWORD src1_sel:WORD_1
	v_mul_f16_sdwa v54, v33, v2 dst_sel:DWORD dst_unused:UNUSED_PAD src0_sel:DWORD src1_sel:WORD_1
	;; [unrolled: 1-line block ×3, first 2 shown]
	v_fma_f16 v31, v31, v0, v51
	v_fma_f16 v10, v10, v1, -v52
	v_fma_f16 v32, v32, v1, v53
	v_fma_f16 v26, v26, v7, -v67
	v_fma_f16 v48, v48, v7, v68
	v_add_f16_e32 v51, v12, v14
	v_fma_f16 v11, v11, v2, -v54
	v_fma_f16 v33, v33, v2, v55
	v_fma_f16 v34, v34, v3, v57
	;; [unrolled: 1-line block ×3, first 2 shown]
	v_sub_f16_e32 v52, v32, v48
	v_sub_f16_e32 v54, v10, v12
	;; [unrolled: 1-line block ×3, first 2 shown]
	v_fma_f16 v51, v51, -0.5, v8
	v_sub_f16_e32 v53, v34, v46
	v_add_f16_e32 v56, v10, v26
	v_add_f16_e32 v54, v54, v55
	v_fma_f16 v55, v52, s7, v51
	v_fma_f16 v51, v52, s1, v51
	v_fma_f16 v9, v9, v0, -v50
	v_add_f16_e32 v50, v8, v10
	v_fma_f16 v8, v56, -0.5, v8
	v_fma_f16 v55, v53, s16, v55
	v_fma_f16 v51, v53, s0, v51
	v_add_f16_e32 v50, v50, v12
	v_fma_f16 v55, v54, s6, v55
	v_fma_f16 v51, v54, s6, v51
	;; [unrolled: 1-line block ×4, first 2 shown]
	v_add_f16_e32 v53, v34, v46
	v_add_f16_e32 v50, v50, v14
	v_sub_f16_e32 v56, v12, v10
	v_sub_f16_e32 v57, v14, v26
	v_fma_f16 v53, v53, -0.5, v30
	v_sub_f16_e32 v10, v10, v26
	v_add_f16_e32 v50, v50, v26
	v_fma_f16 v54, v52, s16, v54
	v_add_f16_e32 v56, v56, v57
	v_fma_f16 v8, v52, s0, v8
	v_fma_f16 v26, v10, s1, v53
	v_sub_f16_e32 v12, v12, v14
	v_fma_f16 v54, v56, s6, v54
	v_fma_f16 v8, v56, s6, v8
	;; [unrolled: 1-line block ×3, first 2 shown]
	v_sub_f16_e32 v26, v32, v34
	v_sub_f16_e32 v56, v48, v46
	v_fma_f16 v53, v10, s7, v53
	v_add_f16_e32 v26, v26, v56
	v_fma_f16 v53, v12, s16, v53
	v_fma_f16 v14, v26, s6, v14
	v_fma_f16 v26, v26, s6, v53
	v_add_f16_e32 v53, v32, v48
	v_mul_f16_sdwa v61, v35, v4 dst_sel:DWORD dst_unused:UNUSED_PAD src0_sel:DWORD src1_sel:WORD_1
	v_mul_f16_sdwa v65, v47, v6 dst_sel:DWORD dst_unused:UNUSED_PAD src0_sel:DWORD src1_sel:WORD_1
	v_add_f16_e32 v52, v30, v32
	v_fma_f16 v30, v53, -0.5, v30
	v_mul_f16_sdwa v62, v13, v4 dst_sel:DWORD dst_unused:UNUSED_PAD src0_sel:DWORD src1_sel:WORD_1
	v_mul_f16_sdwa v66, v15, v6 dst_sel:DWORD dst_unused:UNUSED_PAD src0_sel:DWORD src1_sel:WORD_1
	s_waitcnt vmcnt(0)
	v_mul_f16_sdwa v70, v27, v45 dst_sel:DWORD dst_unused:UNUSED_PAD src0_sel:DWORD src1_sel:WORD_1
	v_fma_f16 v13, v13, v4, -v61
	v_fma_f16 v15, v15, v6, -v65
	v_add_f16_e32 v52, v52, v34
	v_fma_f16 v53, v12, s7, v30
	v_sub_f16_e32 v32, v34, v32
	v_sub_f16_e32 v34, v46, v48
	v_fma_f16 v12, v12, s1, v30
	v_mul_f16_sdwa v69, v49, v45 dst_sel:DWORD dst_unused:UNUSED_PAD src0_sel:DWORD src1_sel:WORD_1
	v_fma_f16 v49, v49, v45, v70
	v_fma_f16 v53, v10, s0, v53
	v_add_f16_e32 v32, v32, v34
	v_fma_f16 v10, v10, s16, v12
	v_add_f16_e32 v30, v13, v15
	v_fma_f16 v35, v35, v4, v62
	v_fma_f16 v47, v47, v6, v66
	v_fma_f16 v27, v27, v45, -v69
	v_add_f16_e32 v52, v52, v46
	v_fma_f16 v34, v32, s6, v53
	v_fma_f16 v10, v32, s6, v10
	v_fma_f16 v30, v30, -0.5, v9
	v_sub_f16_e32 v32, v33, v49
	v_add_f16_e32 v52, v52, v48
	v_fma_f16 v46, v32, s7, v30
	v_sub_f16_e32 v48, v35, v47
	v_sub_f16_e32 v53, v11, v13
	;; [unrolled: 1-line block ×3, first 2 shown]
	v_fma_f16 v30, v32, s1, v30
	v_fma_f16 v46, v48, s16, v46
	v_add_f16_e32 v53, v53, v56
	v_fma_f16 v30, v48, s0, v30
	v_fma_f16 v46, v53, s6, v46
	;; [unrolled: 1-line block ×3, first 2 shown]
	v_add_f16_e32 v53, v11, v27
	v_add_f16_e32 v12, v9, v11
	v_fma_f16 v9, v53, -0.5, v9
	v_add_f16_e32 v12, v12, v13
	v_fma_f16 v53, v48, s1, v9
	v_fma_f16 v9, v48, s7, v9
	v_add_f16_e32 v48, v35, v47
	v_add_f16_e32 v12, v12, v15
	v_sub_f16_e32 v56, v13, v11
	v_sub_f16_e32 v57, v15, v27
	v_fma_f16 v48, v48, -0.5, v31
	v_sub_f16_e32 v11, v11, v27
	v_add_f16_e32 v12, v12, v27
	v_fma_f16 v53, v32, s16, v53
	v_add_f16_e32 v56, v56, v57
	v_fma_f16 v9, v32, s0, v9
	v_fma_f16 v27, v11, s1, v48
	v_sub_f16_e32 v13, v13, v15
	v_fma_f16 v53, v56, s6, v53
	v_fma_f16 v9, v56, s6, v9
	;; [unrolled: 1-line block ×3, first 2 shown]
	v_sub_f16_e32 v27, v33, v35
	v_sub_f16_e32 v56, v49, v47
	v_fma_f16 v48, v11, s7, v48
	v_add_f16_e32 v27, v27, v56
	v_fma_f16 v48, v13, s16, v48
	v_fma_f16 v15, v27, s6, v15
	;; [unrolled: 1-line block ×3, first 2 shown]
	v_add_f16_e32 v48, v33, v49
	v_add_f16_e32 v32, v31, v33
	v_fma_f16 v31, v48, -0.5, v31
	v_add_f16_e32 v32, v32, v35
	v_fma_f16 v48, v13, s7, v31
	v_sub_f16_e32 v33, v35, v33
	v_sub_f16_e32 v35, v47, v49
	v_fma_f16 v13, v13, s1, v31
	v_add_f16_e32 v32, v32, v47
	v_fma_f16 v48, v11, s0, v48
	v_add_f16_e32 v33, v33, v35
	;; [unrolled: 2-line block ×3, first 2 shown]
	v_fma_f16 v11, v33, s6, v11
	v_mul_f16_e32 v31, 0x38b4, v15
	v_mul_f16_e32 v49, 0x34f2, v9
	;; [unrolled: 1-line block ×3, first 2 shown]
	v_fma_f16 v35, v33, s6, v48
	v_fma_f16 v31, v46, s17, v31
	v_fma_f16 v49, v11, s7, -v49
	v_fma_f16 v57, v27, s16, -v57
	v_mul_f16_e32 v46, 0xb8b4, v46
	v_mul_f16_e32 v11, 0x34f2, v11
	;; [unrolled: 1-line block ×4, first 2 shown]
	v_fma_f16 v15, v15, s17, v46
	v_mul_f16_e32 v46, 0xbb9c, v53
	v_fma_f16 v9, v9, s1, -v11
	v_fma_f16 v27, v30, s0, -v27
	v_add_f16_e32 v13, v50, v12
	v_add_f16_e32 v33, v55, v31
	v_fma_f16 v47, v53, s6, v47
	v_add_f16_e32 v62, v52, v32
	v_add_f16_e32 v63, v14, v15
	v_fma_f16 v35, v35, s6, v46
	v_add_f16_e32 v11, v10, v9
	v_add_f16_e32 v30, v26, v27
	v_sub_f16_e32 v9, v10, v9
	v_sub_f16_e32 v10, v26, v27
	v_mul_u32_u24_e32 v26, 0xaa, v28
	v_add_f16_e32 v48, v54, v47
	v_add_f16_e32 v56, v8, v49
	v_add_f16_e32 v53, v34, v35
	v_add_lshl_u32 v46, v26, v29, 2
	v_pack_b32_f16 v13, v13, v62
	v_pack_b32_f16 v26, v33, v63
	v_add_f16_e32 v61, v51, v57
	v_sub_f16_e32 v12, v50, v12
	v_sub_f16_e32 v32, v52, v32
	ds_write2_b32 v46, v13, v26 offset1:17
	v_pack_b32_f16 v13, v48, v53
	v_pack_b32_f16 v11, v56, v11
	v_sub_f16_e32 v31, v55, v31
	v_sub_f16_e32 v47, v54, v47
	;; [unrolled: 1-line block ×6, first 2 shown]
	ds_write2_b32 v46, v13, v11 offset0:34 offset1:51
	v_pack_b32_f16 v11, v61, v30
	v_pack_b32_f16 v12, v12, v32
	ds_write2_b32 v46, v11, v12 offset0:68 offset1:85
	v_pack_b32_f16 v11, v31, v14
	v_pack_b32_f16 v12, v47, v15
	;; [unrolled: 1-line block ×4, first 2 shown]
	v_mad_u64_u32 v[26:27], s[4:5], v19, 36, s[4:5]
	ds_write2_b32 v46, v11, v12 offset0:102 offset1:119
	ds_write2_b32 v46, v8, v9 offset0:136 offset1:153
	s_waitcnt lgkmcnt(0)
	s_barrier
	global_load_dwordx4 v[8:11], v[26:27], off offset:612
	global_load_dwordx4 v[12:15], v[26:27], off offset:628
	global_load_dword v47, v[26:27], off offset:644
	ds_read2_b32 v[26:27], v16 offset1:170
	ds_read2_b32 v[28:29], v59 offset0:84 offset1:254
	ds_read2_b32 v[30:31], v60 offset0:40 offset1:210
	;; [unrolled: 1-line block ×4, first 2 shown]
	s_waitcnt lgkmcnt(4)
	v_lshrrev_b32_e32 v49, 16, v27
	s_waitcnt lgkmcnt(3)
	v_lshrrev_b32_e32 v50, 16, v28
	v_lshrrev_b32_e32 v51, 16, v29
	s_waitcnt lgkmcnt(2)
	v_lshrrev_b32_e32 v52, 16, v30
	;; [unrolled: 3-line block ×4, first 2 shown]
	v_lshrrev_b32_e32 v57, 16, v35
	v_lshrrev_b32_e32 v48, 16, v26
	s_waitcnt vmcnt(2)
	v_mul_f16_sdwa v61, v49, v8 dst_sel:DWORD dst_unused:UNUSED_PAD src0_sel:DWORD src1_sel:WORD_1
	v_fma_f16 v61, v27, v8, -v61
	v_mul_f16_sdwa v27, v27, v8 dst_sel:DWORD dst_unused:UNUSED_PAD src0_sel:DWORD src1_sel:WORD_1
	v_fma_f16 v27, v49, v8, v27
	v_mul_f16_sdwa v49, v50, v9 dst_sel:DWORD dst_unused:UNUSED_PAD src0_sel:DWORD src1_sel:WORD_1
	v_fma_f16 v49, v28, v9, -v49
	v_mul_f16_sdwa v28, v28, v9 dst_sel:DWORD dst_unused:UNUSED_PAD src0_sel:DWORD src1_sel:WORD_1
	v_fma_f16 v28, v50, v9, v28
	;; [unrolled: 4-line block ×4, first 2 shown]
	s_waitcnt vmcnt(1)
	v_mul_f16_sdwa v52, v53, v12 dst_sel:DWORD dst_unused:UNUSED_PAD src0_sel:DWORD src1_sel:WORD_1
	v_fma_f16 v52, v31, v12, -v52
	v_mul_f16_sdwa v31, v31, v12 dst_sel:DWORD dst_unused:UNUSED_PAD src0_sel:DWORD src1_sel:WORD_1
	v_fma_f16 v31, v53, v12, v31
	v_mul_f16_sdwa v53, v54, v13 dst_sel:DWORD dst_unused:UNUSED_PAD src0_sel:DWORD src1_sel:WORD_1
	v_fma_f16 v53, v32, v13, -v53
	v_mul_f16_sdwa v32, v32, v13 dst_sel:DWORD dst_unused:UNUSED_PAD src0_sel:DWORD src1_sel:WORD_1
	v_fma_f16 v32, v54, v13, v32
	;; [unrolled: 4-line block ×4, first 2 shown]
	v_add_f16_e32 v62, v51, v53
	v_fma_f16 v62, v62, -0.5, v26
	v_sub_f16_e32 v63, v28, v34
	v_fma_f16 v64, v63, s7, v62
	v_sub_f16_e32 v65, v30, v32
	v_sub_f16_e32 v66, v49, v51
	;; [unrolled: 1-line block ×3, first 2 shown]
	v_fma_f16 v62, v63, s1, v62
	s_waitcnt vmcnt(0)
	v_mul_f16_sdwa v56, v57, v47 dst_sel:DWORD dst_unused:UNUSED_PAD src0_sel:DWORD src1_sel:WORD_1
	v_fma_f16 v64, v65, s16, v64
	v_add_f16_e32 v66, v66, v67
	v_fma_f16 v62, v65, s0, v62
	v_fma_f16 v56, v35, v47, -v56
	v_mul_f16_sdwa v35, v35, v47 dst_sel:DWORD dst_unused:UNUSED_PAD src0_sel:DWORD src1_sel:WORD_1
	v_fma_f16 v64, v66, s6, v64
	v_fma_f16 v62, v66, s6, v62
	v_add_f16_e32 v66, v49, v55
	v_fma_f16 v35, v57, v47, v35
	v_add_f16_e32 v57, v26, v49
	v_fma_f16 v26, v66, -0.5, v26
	v_fma_f16 v66, v65, s1, v26
	v_sub_f16_e32 v67, v51, v49
	v_sub_f16_e32 v68, v53, v55
	v_fma_f16 v26, v65, s7, v26
	v_add_f16_e32 v67, v67, v68
	v_fma_f16 v26, v63, s0, v26
	v_fma_f16 v66, v63, s16, v66
	v_fma_f16 v63, v67, s6, v26
	v_add_f16_e32 v26, v48, v28
	v_add_f16_e32 v26, v26, v30
	;; [unrolled: 1-line block ×7, first 2 shown]
	v_fma_f16 v26, v26, -0.5, v48
	v_sub_f16_e32 v49, v49, v55
	v_add_f16_e32 v57, v57, v55
	v_fma_f16 v55, v49, s1, v26
	v_sub_f16_e32 v51, v51, v53
	v_fma_f16 v66, v67, s6, v66
	v_fma_f16 v53, v51, s0, v55
	v_sub_f16_e32 v55, v28, v30
	v_sub_f16_e32 v67, v34, v32
	v_fma_f16 v26, v49, s7, v26
	v_add_f16_e32 v55, v55, v67
	v_fma_f16 v26, v51, s16, v26
	v_fma_f16 v68, v55, s6, v26
	v_add_f16_e32 v26, v28, v34
	v_fma_f16 v26, v26, -0.5, v48
	v_fma_f16 v48, v51, s7, v26
	v_sub_f16_e32 v28, v30, v28
	v_sub_f16_e32 v30, v32, v34
	v_fma_f16 v26, v51, s1, v26
	v_add_f16_e32 v28, v28, v30
	v_fma_f16 v26, v49, s16, v26
	v_fma_f16 v69, v28, s6, v26
	v_add_f16_e32 v26, v61, v50
	v_add_f16_e32 v26, v26, v52
	;; [unrolled: 1-line block ×3, first 2 shown]
	v_fma_f16 v48, v49, s0, v48
	v_add_f16_e32 v32, v26, v56
	v_add_f16_e32 v26, v52, v54
	v_fma_f16 v67, v55, s6, v53
	v_fma_f16 v55, v28, s6, v48
	v_fma_f16 v26, v26, -0.5, v61
	v_sub_f16_e32 v28, v29, v35
	v_fma_f16 v30, v28, s7, v26
	v_sub_f16_e32 v34, v31, v33
	v_sub_f16_e32 v48, v50, v52
	;; [unrolled: 1-line block ×3, first 2 shown]
	v_fma_f16 v26, v28, s1, v26
	v_add_f16_e32 v48, v48, v49
	v_fma_f16 v26, v34, s0, v26
	v_fma_f16 v53, v48, s6, v26
	v_add_f16_e32 v26, v50, v56
	v_fma_f16 v30, v34, s16, v30
	v_fma_f16 v26, v26, -0.5, v61
	v_fma_f16 v49, v48, s6, v30
	v_fma_f16 v30, v34, s1, v26
	v_sub_f16_e32 v48, v52, v50
	v_sub_f16_e32 v51, v54, v56
	v_fma_f16 v26, v34, s7, v26
	v_add_f16_e32 v48, v48, v51
	v_fma_f16 v26, v28, s0, v26
	v_fma_f16 v34, v48, s6, v26
	v_add_f16_e32 v26, v27, v29
	v_add_f16_e32 v26, v26, v31
	;; [unrolled: 1-line block ×5, first 2 shown]
	v_fma_f16 v30, v28, s16, v30
	v_fma_f16 v26, v26, -0.5, v27
	v_sub_f16_e32 v28, v50, v56
	v_fma_f16 v51, v48, s6, v30
	v_fma_f16 v30, v28, s1, v26
	v_sub_f16_e32 v48, v52, v54
	v_sub_f16_e32 v50, v29, v31
	;; [unrolled: 1-line block ×3, first 2 shown]
	v_fma_f16 v26, v28, s7, v26
	v_add_f16_e32 v50, v50, v52
	v_fma_f16 v26, v48, s16, v26
	v_fma_f16 v54, v50, s6, v26
	v_add_f16_e32 v26, v29, v35
	v_fma_f16 v30, v48, s0, v30
	v_fma_f16 v26, v26, -0.5, v27
	v_fma_f16 v52, v50, s6, v30
	v_fma_f16 v27, v48, s7, v26
	v_sub_f16_e32 v29, v31, v29
	v_sub_f16_e32 v30, v33, v35
	v_fma_f16 v27, v28, s0, v27
	v_add_f16_e32 v29, v29, v30
	v_fma_f16 v26, v48, s1, v26
	v_fma_f16 v31, v29, s6, v27
	v_fma_f16 v26, v28, s16, v26
	v_mul_f16_e32 v27, 0x38b4, v52
	v_fma_f16 v33, v29, s6, v26
	v_fma_f16 v35, v49, s17, v27
	v_mul_f16_e32 v49, 0xb8b4, v49
	v_mul_f16_e32 v50, 0xbb9c, v51
	v_mul_f16_e32 v28, 0x3b9c, v31
	v_mul_f16_e32 v29, 0x34f2, v34
	v_mul_f16_e32 v30, 0x3a79, v53
	v_fma_f16 v72, v52, s17, v49
	v_fma_f16 v73, v31, s6, v50
	v_mul_f16_e32 v31, 0x34f2, v33
	v_add_f16_e32 v26, v57, v32
	v_add_f16_e32 v27, v64, v35
	v_fma_f16 v56, v51, s6, v28
	v_fma_f16 v70, v33, s7, -v29
	v_fma_f16 v71, v54, s16, -v30
	v_add_f16_e32 v48, v65, v61
	v_add_f16_e32 v49, v67, v72
	v_fma_f16 v74, v34, s1, -v31
	v_mul_f16_e32 v31, 0x3a79, v54
	v_add_f16_e32 v28, v66, v56
	v_add_f16_e32 v29, v63, v70
	;; [unrolled: 1-line block ×5, first 2 shown]
	v_fma_f16 v75, v53, s0, -v31
	v_sub_f16_e32 v31, v57, v32
	v_sub_f16_e32 v32, v64, v35
	;; [unrolled: 1-line block ×4, first 2 shown]
	v_pack_b32_f16 v61, v26, v48
	v_pack_b32_f16 v62, v27, v49
	v_add_f16_e32 v52, v68, v75
	ds_write2_b32 v16, v61, v62 offset1:170
	v_pack_b32_f16 v61, v28, v50
	v_pack_b32_f16 v62, v29, v51
	v_sub_f16_e32 v33, v66, v56
	v_sub_f16_e32 v54, v67, v72
	;; [unrolled: 1-line block ×3, first 2 shown]
	ds_write2_b32 v59, v61, v62 offset0:84 offset1:254
	v_pack_b32_f16 v61, v30, v52
	v_pack_b32_f16 v62, v31, v53
	v_sub_f16_e32 v34, v63, v70
	v_sub_f16_e32 v56, v69, v74
	;; [unrolled: 1-line block ×3, first 2 shown]
	ds_write2_b32 v60, v61, v62 offset0:40 offset1:210
	v_pack_b32_f16 v60, v32, v54
	v_pack_b32_f16 v61, v33, v55
	ds_write2_b32 v17, v60, v61 offset0:60 offset1:230
	v_pack_b32_f16 v17, v34, v56
	v_pack_b32_f16 v60, v35, v57
	ds_write2_b32 v58, v17, v60 offset0:80 offset1:250
	s_waitcnt lgkmcnt(0)
	s_barrier
	s_and_saveexec_b64 s[0:1], s[2:3]
	s_cbranch_execz .LBB0_9
; %bb.8:
	v_mov_b32_e32 v17, 0
	v_lshl_add_u64 v[60:61], s[12:13], 0, v[16:17]
	s_mov_b64 s[4:5], 0x1a90
	v_lshl_add_u64 v[62:63], v[60:61], 0, s[4:5]
	global_load_dword v17, v[62:63], off offset:400
	v_add_co_u32_e32 v64, vcc, 0x1000, v60
	s_movk_i32 s4, 0x2000
	s_nop 0
	v_addc_co_u32_e32 v65, vcc, 0, v61, vcc
	global_load_dword v66, v[64:65], off offset:2704
	global_load_dword v68, v[62:63], off offset:800
	;; [unrolled: 1-line block ×9, first 2 shown]
	v_add_co_u32_e32 v64, vcc, s4, v60
	s_movk_i32 s5, 0x3000
	s_nop 0
	v_addc_co_u32_e32 v65, vcc, 0, v61, vcc
	v_add_co_u32_e32 v60, vcc, s5, v60
	v_add_u32_e32 v82, 0x200, v16
	s_nop 0
	v_addc_co_u32_e32 v61, vcc, 0, v61, vcc
	global_load_dword v76, v[64:65], off offset:3008
	global_load_dword v77, v[64:65], off offset:3408
	;; [unrolled: 1-line block ×6, first 2 shown]
	ds_read2_b32 v[62:63], v16 offset1:100
	v_add_u32_e32 v83, 0x800, v16
	v_add_u32_e32 v84, 0xc00, v16
	s_waitcnt lgkmcnt(0)
	v_lshrrev_b32_e32 v64, 16, v62
	v_lshrrev_b32_e32 v65, 16, v63
	s_waitcnt vmcnt(14)
	v_mul_f16_sdwa v86, v64, v66 dst_sel:DWORD dst_unused:UNUSED_PAD src0_sel:DWORD src1_sel:WORD_1
	v_mul_f16_sdwa v67, v65, v17 dst_sel:DWORD dst_unused:UNUSED_PAD src0_sel:DWORD src1_sel:WORD_1
	;; [unrolled: 1-line block ×4, first 2 shown]
	v_fma_f16 v63, v63, v17, -v67
	v_fma_f16 v17, v65, v17, v85
	v_fma_f16 v62, v62, v66, -v86
	v_fma_f16 v64, v64, v66, v87
	v_pack_b32_f16 v17, v63, v17
	v_pack_b32_f16 v62, v62, v64
	ds_write2_b32 v16, v62, v17 offset1:100
	global_load_dword v17, v[60:61], off offset:912
	ds_read2_b32 v[62:63], v82 offset0:72 offset1:172
	ds_read2_b32 v[60:61], v59 offset0:144 offset1:244
	;; [unrolled: 1-line block ×4, first 2 shown]
	s_waitcnt lgkmcnt(2)
	v_lshrrev_b32_e32 v89, 16, v60
	v_lshrrev_b32_e32 v85, 16, v62
	s_waitcnt vmcnt(14)
	v_mul_f16_sdwa v86, v62, v68 dst_sel:DWORD dst_unused:UNUSED_PAD src0_sel:DWORD src1_sel:WORD_1
	v_lshrrev_b32_e32 v87, 16, v63
	s_waitcnt vmcnt(13)
	v_mul_f16_sdwa v88, v63, v69 dst_sel:DWORD dst_unused:UNUSED_PAD src0_sel:DWORD src1_sel:WORD_1
	s_waitcnt vmcnt(12)
	v_mul_f16_sdwa v90, v60, v70 dst_sel:DWORD dst_unused:UNUSED_PAD src0_sel:DWORD src1_sel:WORD_1
	v_lshrrev_b32_e32 v91, 16, v61
	s_waitcnt vmcnt(11)
	v_mul_f16_sdwa v92, v61, v71 dst_sel:DWORD dst_unused:UNUSED_PAD src0_sel:DWORD src1_sel:WORD_1
	s_waitcnt lgkmcnt(1)
	v_lshrrev_b32_e32 v93, 16, v64
	s_waitcnt vmcnt(10)
	v_mul_f16_sdwa v94, v64, v72 dst_sel:DWORD dst_unused:UNUSED_PAD src0_sel:DWORD src1_sel:WORD_1
	v_lshrrev_b32_e32 v95, 16, v65
	v_mul_f16_sdwa v98, v85, v68 dst_sel:DWORD dst_unused:UNUSED_PAD src0_sel:DWORD src1_sel:WORD_1
	v_fma_f16 v85, v85, v68, v86
	v_mul_f16_sdwa v86, v87, v69 dst_sel:DWORD dst_unused:UNUSED_PAD src0_sel:DWORD src1_sel:WORD_1
	v_fma_f16 v87, v87, v69, v88
	v_mul_f16_sdwa v88, v89, v70 dst_sel:DWORD dst_unused:UNUSED_PAD src0_sel:DWORD src1_sel:WORD_1
	s_waitcnt vmcnt(9)
	v_mul_f16_sdwa v96, v65, v73 dst_sel:DWORD dst_unused:UNUSED_PAD src0_sel:DWORD src1_sel:WORD_1
	v_fma_f16 v89, v89, v70, v90
	v_mul_f16_sdwa v90, v91, v71 dst_sel:DWORD dst_unused:UNUSED_PAD src0_sel:DWORD src1_sel:WORD_1
	v_fma_f16 v91, v91, v71, v92
	;; [unrolled: 2-line block ×3, first 2 shown]
	v_mul_f16_sdwa v94, v95, v73 dst_sel:DWORD dst_unused:UNUSED_PAD src0_sel:DWORD src1_sel:WORD_1
	v_fma_f16 v62, v62, v68, -v98
	v_fma_f16 v63, v63, v69, -v86
	;; [unrolled: 1-line block ×3, first 2 shown]
	s_waitcnt lgkmcnt(0)
	v_lshrrev_b32_e32 v97, 16, v66
	v_fma_f16 v95, v95, v73, v96
	v_fma_f16 v61, v61, v71, -v90
	v_fma_f16 v64, v64, v72, -v92
	;; [unrolled: 1-line block ×3, first 2 shown]
	v_pack_b32_f16 v62, v62, v85
	v_pack_b32_f16 v63, v63, v87
	;; [unrolled: 1-line block ×6, first 2 shown]
	ds_write2_b32 v82, v62, v63 offset0:72 offset1:172
	ds_write2_b32 v59, v60, v61 offset0:144 offset1:244
	;; [unrolled: 1-line block ×3, first 2 shown]
	s_waitcnt vmcnt(8)
	v_mul_f16_sdwa v59, v97, v74 dst_sel:DWORD dst_unused:UNUSED_PAD src0_sel:DWORD src1_sel:WORD_1
	v_mul_f16_sdwa v60, v66, v74 dst_sel:DWORD dst_unused:UNUSED_PAD src0_sel:DWORD src1_sel:WORD_1
	v_fma_f16 v59, v66, v74, -v59
	v_fma_f16 v60, v97, v74, v60
	v_lshrrev_b32_e32 v62, 16, v67
	v_pack_b32_f16 v59, v59, v60
	s_waitcnt vmcnt(7)
	v_mul_f16_sdwa v60, v62, v75 dst_sel:DWORD dst_unused:UNUSED_PAD src0_sel:DWORD src1_sel:WORD_1
	v_add_u32_e32 v64, 0xe00, v16
	v_fma_f16 v63, v67, v75, -v60
	ds_read2_b32 v[60:61], v64 offset0:104 offset1:204
	v_mul_f16_sdwa v65, v67, v75 dst_sel:DWORD dst_unused:UNUSED_PAD src0_sel:DWORD src1_sel:WORD_1
	v_fma_f16 v62, v62, v75, v65
	v_pack_b32_f16 v62, v63, v62
	ds_write2_b32 v84, v59, v62 offset0:32 offset1:132
	s_waitcnt lgkmcnt(1)
	v_lshrrev_b32_e32 v59, 16, v60
	s_waitcnt vmcnt(1)
	v_mul_f16_sdwa v62, v59, v81 dst_sel:DWORD dst_unused:UNUSED_PAD src0_sel:DWORD src1_sel:WORD_1
	v_fma_f16 v62, v60, v81, -v62
	v_mul_f16_sdwa v60, v60, v81 dst_sel:DWORD dst_unused:UNUSED_PAD src0_sel:DWORD src1_sel:WORD_1
	v_fma_f16 v59, v59, v81, v60
	v_lshrrev_b32_e32 v60, 16, v61
	v_pack_b32_f16 v59, v62, v59
	v_mul_f16_sdwa v62, v60, v76 dst_sel:DWORD dst_unused:UNUSED_PAD src0_sel:DWORD src1_sel:WORD_1
	v_add_u32_e32 v66, 0x1200, v16
	v_fma_f16 v65, v61, v76, -v62
	ds_read2_b32 v[62:63], v66 offset0:48 offset1:148
	v_mul_f16_sdwa v61, v61, v76 dst_sel:DWORD dst_unused:UNUSED_PAD src0_sel:DWORD src1_sel:WORD_1
	v_fma_f16 v60, v60, v76, v61
	v_pack_b32_f16 v60, v65, v60
	ds_write2_b32 v64, v59, v60 offset0:104 offset1:204
	s_waitcnt lgkmcnt(1)
	v_lshrrev_b32_e32 v59, 16, v62
	v_mul_f16_sdwa v60, v59, v77 dst_sel:DWORD dst_unused:UNUSED_PAD src0_sel:DWORD src1_sel:WORD_1
	v_mul_f16_sdwa v61, v62, v77 dst_sel:DWORD dst_unused:UNUSED_PAD src0_sel:DWORD src1_sel:WORD_1
	v_fma_f16 v60, v62, v77, -v60
	v_fma_f16 v59, v59, v77, v61
	v_lshrrev_b32_e32 v62, 16, v63
	v_pack_b32_f16 v59, v60, v59
	v_mul_f16_sdwa v60, v62, v78 dst_sel:DWORD dst_unused:UNUSED_PAD src0_sel:DWORD src1_sel:WORD_1
	v_fma_f16 v64, v63, v78, -v60
	ds_read2_b32 v[60:61], v58 offset0:120 offset1:220
	v_mul_f16_sdwa v63, v63, v78 dst_sel:DWORD dst_unused:UNUSED_PAD src0_sel:DWORD src1_sel:WORD_1
	v_fma_f16 v62, v62, v78, v63
	v_pack_b32_f16 v62, v64, v62
	ds_write2_b32 v66, v59, v62 offset0:48 offset1:148
	s_waitcnt lgkmcnt(1)
	v_lshrrev_b32_e32 v59, 16, v60
	v_mul_f16_sdwa v62, v59, v79 dst_sel:DWORD dst_unused:UNUSED_PAD src0_sel:DWORD src1_sel:WORD_1
	v_fma_f16 v62, v60, v79, -v62
	v_mul_f16_sdwa v60, v60, v79 dst_sel:DWORD dst_unused:UNUSED_PAD src0_sel:DWORD src1_sel:WORD_1
	v_fma_f16 v59, v59, v79, v60
	v_lshrrev_b32_e32 v60, 16, v61
	ds_read_b32 v63, v16 offset:6400
	v_pack_b32_f16 v59, v62, v59
	v_mul_f16_sdwa v62, v60, v80 dst_sel:DWORD dst_unused:UNUSED_PAD src0_sel:DWORD src1_sel:WORD_1
	v_fma_f16 v62, v61, v80, -v62
	v_mul_f16_sdwa v61, v61, v80 dst_sel:DWORD dst_unused:UNUSED_PAD src0_sel:DWORD src1_sel:WORD_1
	v_fma_f16 v60, v60, v80, v61
	v_pack_b32_f16 v60, v62, v60
	ds_write2_b32 v58, v59, v60 offset0:120 offset1:220
	s_waitcnt lgkmcnt(1)
	v_lshrrev_b32_e32 v58, 16, v63
	s_waitcnt vmcnt(0)
	v_mul_f16_sdwa v59, v58, v17 dst_sel:DWORD dst_unused:UNUSED_PAD src0_sel:DWORD src1_sel:WORD_1
	v_mul_f16_sdwa v60, v63, v17 dst_sel:DWORD dst_unused:UNUSED_PAD src0_sel:DWORD src1_sel:WORD_1
	v_fma_f16 v59, v63, v17, -v59
	v_fma_f16 v17, v58, v17, v60
	v_pack_b32_f16 v17, v59, v17
	ds_write_b32 v16, v17 offset:6400
.LBB0_9:
	s_or_b64 exec, exec, s[0:1]
	s_waitcnt lgkmcnt(0)
	s_barrier
	s_and_saveexec_b64 s[0:1], s[2:3]
	s_cbranch_execz .LBB0_11
; %bb.10:
	v_add_u32_e32 v17, 0x200, v16
	ds_read2_b32 v[28:29], v17 offset0:72 offset1:172
	v_add_u32_e32 v17, 0x400, v16
	ds_read2_b32 v[30:31], v17 offset0:144 offset1:244
	;; [unrolled: 2-line block ×6, first 2 shown]
	v_add_u32_e32 v17, 0x1400, v16
	ds_read2_b32 v[26:27], v16 offset1:100
	ds_read2_b32 v[20:21], v17 offset0:120 offset1:220
	ds_read_b32 v41, v16 offset:6400
	s_waitcnt lgkmcnt(8)
	v_lshrrev_b32_e32 v50, 16, v28
	v_lshrrev_b32_e32 v51, 16, v29
	s_waitcnt lgkmcnt(2)
	v_lshrrev_b32_e32 v48, 16, v26
	v_lshrrev_b32_e32 v49, 16, v27
	;; [unrolled: 1-line block ×12, first 2 shown]
	s_waitcnt lgkmcnt(1)
	v_lshrrev_b32_e32 v40, 16, v20
	v_lshrrev_b32_e32 v39, 16, v21
	s_waitcnt lgkmcnt(0)
	v_lshrrev_b32_e32 v38, 16, v41
.LBB0_11:
	s_or_b64 exec, exec, s[0:1]
	s_barrier
	s_and_saveexec_b64 s[0:1], s[2:3]
	s_cbranch_execz .LBB0_13
; %bb.12:
	v_add_f16_e32 v79, v38, v49
	v_mul_f16_e32 v80, 0xbbdd, v79
	v_sub_f16_e32 v17, v27, v41
	s_movk_i32 s27, 0x31e1
	v_fma_f16 v58, v17, s27, v80
	v_add_f16_e32 v81, v39, v50
	v_add_f16_e32 v59, v48, v58
	v_mul_f16_e32 v82, 0x3b76, v81
	v_sub_f16_e32 v58, v28, v21
	s_mov_b32 s17, 0xb5c8
	v_fma_f16 v60, v58, s17, v82
	v_add_f16_e32 v83, v40, v51
	v_add_f16_e32 v59, v60, v59
	v_mul_f16_e32 v84, 0xbacd, v83
	v_sub_f16_e32 v60, v29, v20
	s_movk_i32 s23, 0x3836
	v_fma_f16 v61, v60, s23, v84
	v_add_f16_e32 v85, v43, v52
	v_add_f16_e32 v59, v61, v59
	v_mul_f16_e32 v86, 0x39e9, v85
	v_sub_f16_e32 v61, v30, v23
	s_mov_b32 s20, 0xb964
	v_fma_f16 v62, v61, s20, v86
	v_add_f16_e32 v87, v44, v53
	v_add_f16_e32 v59, v62, v59
	v_mul_f16_e32 v88, 0xb8d2, v87
	v_sub_f16_e32 v62, v31, v22
	s_movk_i32 s34, 0x3a62
	v_fma_f16 v63, v62, s34, v88
	v_add_f16_e32 v89, v42, v54
	v_add_f16_e32 v59, v63, v59
	v_mul_f16_e32 v90, 0x3722, v89
	v_sub_f16_e32 v63, v32, v25
	s_mov_b32 s22, 0xbb29
	v_fma_f16 v64, v63, s22, v90
	v_add_f16_e32 v91, v37, v55
	v_add_f16_e32 v59, v64, v59
	v_mul_f16_e32 v92, 0xb461, v91
	v_sub_f16_e32 v64, v33, v24
	s_movk_i32 s28, 0x3bb2
	v_fma_f16 v65, v64, s28, v92
	v_add_f16_e32 v93, v57, v56
	v_add_f16_e32 v59, v65, v59
	v_mul_f16_e32 v94, 0x2de8, v93
	v_sub_f16_e32 v65, v34, v35
	s_mov_b32 s25, 0xbbf7
	v_fma_f16 v66, v65, s25, v94
	v_sub_f16_e32 v95, v49, v38
	s_mov_b32 s4, 0xbbdd
	v_add_f16_e32 v59, v66, v59
	v_add_f16_e32 v66, v41, v27
	v_mul_f16_e32 v96, 0xb1e1, v95
	v_fma_f16 v67, v66, s4, v96
	v_sub_f16_e32 v97, v50, v39
	s_movk_i32 s6, 0x3b76
	v_add_f16_e32 v68, v26, v67
	v_add_f16_e32 v67, v21, v28
	v_mul_f16_e32 v98, 0x35c8, v97
	v_fma_f16 v69, v67, s6, v98
	v_sub_f16_e32 v99, v51, v40
	s_mov_b32 s5, 0xbacd
	v_add_f16_e32 v69, v69, v68
	v_add_f16_e32 v68, v20, v29
	v_mul_f16_e32 v100, 0xb836, v99
	v_fma_f16 v70, v68, s5, v100
	v_sub_f16_e32 v101, v52, v43
	s_movk_i32 s16, 0x39e9
	v_add_f16_e32 v70, v70, v69
	v_add_f16_e32 v69, v23, v30
	v_mul_f16_e32 v102, 0x3964, v101
	;; [unrolled: 12-line block ×4, first 2 shown]
	v_fma_f16 v75, v74, s21, v110
	v_mul_f16_e32 v111, 0xbacd, v79
	v_add_f16_e32 v71, v75, v71
	v_fma_f16 v75, v17, s23, v111
	v_mul_f16_e32 v112, 0x3722, v81
	s_movk_i32 s36, 0x3bf7
	v_add_f16_e32 v75, v48, v75
	v_fma_f16 v76, v58, s22, v112
	v_mul_f16_e32 v113, 0x2de8, v83
	s_mov_b32 s29, 0xba62
	v_add_f16_e32 v75, v76, v75
	v_fma_f16 v76, v60, s36, v113
	v_mul_f16_e32 v114, 0xb8d2, v85
	s_movk_i32 s30, 0x35c8
	v_add_f16_e32 v75, v76, v75
	v_fma_f16 v76, v61, s29, v114
	v_mul_f16_e32 v115, 0x3b76, v87
	v_add_f16_e32 v75, v76, v75
	v_fma_f16 v76, v62, s30, v115
	v_mul_f16_e32 v116, 0xbbdd, v89
	;; [unrolled: 3-line block ×13, first 2 shown]
	s_mov_b32 s31, 0xbbb2
	v_add_f16_e32 v76, v77, v76
	v_fma_f16 v77, v17, s34, v127
	v_mul_f16_e32 v128, 0xb461, v81
	v_add_f16_e32 v77, v48, v77
	v_fma_f16 v78, v58, s31, v128
	v_mul_f16_e32 v129, 0x3b76, v83
	;; [unrolled: 3-line block ×4, first 2 shown]
	s_movk_i32 s35, 0x3964
	v_add_f16_e32 v77, v78, v77
	v_fma_f16 v78, v62, s25, v131
	v_mul_f16_e32 v132, 0x39e9, v89
	v_add_f16_e32 v77, v78, v77
	v_fma_f16 v78, v63, s35, v132
	v_mul_f16_e32 v133, 0xbbdd, v91
	;; [unrolled: 3-line block ×5, first 2 shown]
	v_add_f16_e32 v78, v26, v78
	v_fma_f16 v137, v67, s19, v136
	v_add_f16_e32 v78, v137, v78
	v_mul_f16_e32 v137, 0xb5c8, v99
	v_fma_f16 v138, v68, s6, v137
	v_add_f16_e32 v78, v138, v78
	v_mul_f16_e32 v138, 0xb836, v101
	;; [unrolled: 3-line block ×5, first 2 shown]
	v_fma_f16 v142, v73, s4, v141
	v_add_f16_e32 v27, v27, v26
	v_add_f16_e32 v78, v142, v78
	v_mul_f16_e32 v142, 0x3b29, v109
	v_add_f16_e32 v27, v28, v27
	v_fma_f16 v143, v74, s18, v142
	v_add_f16_e32 v27, v29, v27
	v_add_f16_e32 v78, v143, v78
	v_mul_f16_e32 v143, 0xb461, v79
	v_add_f16_e32 v27, v30, v27
	s_mov_b32 s26, 0xb836
	v_fma_f16 v144, v17, s28, v143
	v_mul_f16_e32 v145, 0xbacd, v81
	v_add_f16_e32 v27, v31, v27
	v_add_f16_e32 v144, v48, v144
	v_fma_f16 v146, v58, s26, v145
	v_add_f16_e32 v27, v32, v27
	v_add_f16_e32 v144, v146, v144
	v_mul_f16_e32 v146, 0x39e9, v83
	v_add_f16_e32 v27, v33, v27
	v_fma_f16 v147, v60, s20, v146
	v_add_f16_e32 v27, v34, v27
	s_movk_i32 s33, 0x3b29
	v_add_f16_e32 v144, v147, v144
	v_mul_f16_e32 v147, 0x3722, v85
	v_add_f16_e32 v27, v35, v27
	v_fma_f16 v148, v61, s33, v147
	v_add_f16_e32 v24, v24, v27
	v_add_f16_e32 v144, v148, v144
	v_mul_f16_e32 v148, 0xbbdd, v87
	v_add_f16_e32 v24, v25, v24
	v_fma_f16 v149, v62, s27, v148
	v_add_f16_e32 v22, v22, v24
	s_mov_b32 s24, 0xb1e1
	v_add_f16_e32 v144, v149, v144
	v_mul_f16_e32 v149, 0x2de8, v89
	v_add_f16_e32 v22, v23, v22
	v_fma_f16 v150, v63, s25, v149
	v_add_f16_e32 v20, v20, v22
	v_fma_f16 v22, v17, s24, v80
	v_add_f16_e32 v144, v150, v144
	v_mul_f16_e32 v150, 0x3b76, v91
	v_add_f16_e32 v22, v48, v22
	v_fma_f16 v23, v58, s30, v82
	v_fma_f16 v151, v64, s30, v150
	v_add_f16_e32 v22, v23, v22
	v_fma_f16 v23, v60, s26, v84
	v_add_f16_e32 v144, v151, v144
	v_mul_f16_e32 v151, 0xb8d2, v93
	v_add_f16_e32 v22, v23, v22
	v_fma_f16 v23, v61, s35, v86
	;; [unrolled: 7-line block ×3, first 2 shown]
	v_fma_f16 v153, v66, s19, v152
	v_mul_f16_e32 v154, 0x3836, v97
	v_add_f16_e32 v22, v23, v22
	v_fma_f16 v23, v64, s31, v92
	v_add_f16_e32 v153, v26, v153
	v_fma_f16 v155, v67, s5, v154
	;; [unrolled: 2-line block ×3, first 2 shown]
	v_add_f16_e32 v153, v155, v153
	v_mul_f16_e32 v155, 0x3964, v99
	v_add_f16_e32 v22, v23, v22
	v_fma_f16 v23, v66, s4, -v96
	v_fma_f16 v156, v68, s16, v155
	v_add_f16_e32 v23, v26, v23
	v_fma_f16 v24, v67, s6, -v98
	v_add_f16_e32 v153, v156, v153
	v_mul_f16_e32 v156, 0xbb29, v101
	v_add_f16_e32 v23, v24, v23
	v_fma_f16 v24, v68, s5, -v100
	v_fma_f16 v157, v69, s18, v156
	v_add_f16_e32 v23, v24, v23
	v_fma_f16 v24, v69, s16, -v102
	;; [unrolled: 7-line block ×4, first 2 shown]
	v_add_f16_e32 v153, v159, v153
	v_mul_f16_e32 v159, 0xb5c8, v107
	v_add_f16_e32 v23, v24, v23
	v_fma_f16 v24, v17, s26, v111
	v_fma_f16 v160, v73, s6, v159
	v_add_f16_e32 v24, v48, v24
	v_fma_f16 v25, v58, s33, v112
	v_add_f16_e32 v153, v160, v153
	v_mul_f16_e32 v160, 0xba62, v109
	v_add_f16_e32 v24, v25, v24
	v_fma_f16 v25, v60, s25, v113
	v_fma_f16 v161, v74, s7, v160
	v_add_f16_e32 v24, v25, v24
	v_fma_f16 v25, v61, s34, v114
	v_add_f16_e32 v153, v161, v153
	v_mul_f16_e32 v161, 0x2de8, v79
	v_add_f16_e32 v24, v25, v24
	v_fma_f16 v25, v62, s17, v115
	v_fma_f16 v162, v17, s36, v161
	v_mul_f16_e32 v163, 0xbbdd, v81
	v_add_f16_e32 v24, v25, v24
	v_fma_f16 v25, v63, s24, v116
	v_add_f16_e32 v162, v48, v162
	v_fma_f16 v164, v58, s27, v163
	;; [unrolled: 2-line block ×3, first 2 shown]
	v_add_f16_e32 v162, v164, v162
	v_mul_f16_e32 v164, 0xb461, v83
	v_add_f16_e32 v24, v25, v24
	v_fma_f16 v25, v65, s31, v118
	v_fma_f16 v165, v60, s31, v164
	v_add_f16_e32 v24, v25, v24
	v_fma_f16 v25, v66, s5, -v119
	v_add_f16_e32 v162, v165, v162
	v_mul_f16_e32 v165, 0x3b76, v85
	v_add_f16_e32 v25, v26, v25
	v_fma_f16 v27, v67, s18, -v120
	v_fma_f16 v166, v61, s17, v165
	v_add_f16_e32 v25, v27, v25
	v_fma_f16 v27, v68, s21, -v121
	v_add_f16_e32 v162, v166, v162
	v_mul_f16_e32 v166, 0x3722, v87
	v_add_f16_e32 v25, v27, v25
	v_fma_f16 v27, v69, s7, -v122
	;; [unrolled: 7-line block ×4, first 2 shown]
	v_fma_f16 v169, v64, s29, v168
	v_add_f16_e32 v25, v27, v25
	v_fma_f16 v27, v17, s29, v127
	v_add_f16_e32 v162, v169, v162
	v_mul_f16_e32 v169, 0x39e9, v93
	v_add_f16_e32 v27, v48, v27
	v_fma_f16 v28, v58, s28, v128
	v_fma_f16 v170, v65, s20, v169
	v_add_f16_e32 v27, v28, v27
	v_fma_f16 v28, v60, s17, v129
	v_add_f16_e32 v162, v170, v162
	v_mul_f16_e32 v170, 0xbbf7, v95
	v_add_f16_e32 v27, v28, v27
	v_fma_f16 v28, v61, s26, v130
	v_fma_f16 v171, v66, s21, v170
	v_mul_f16_e32 v172, 0xb1e1, v97
	v_add_f16_e32 v27, v28, v27
	v_fma_f16 v28, v62, s36, v131
	v_add_f16_e32 v171, v26, v171
	v_fma_f16 v173, v67, s4, v172
	v_add_f16_e32 v27, v28, v27
	v_fma_f16 v28, v63, s20, v132
	v_add_f16_e32 v171, v173, v171
	v_mul_f16_e32 v173, 0x3bb2, v99
	v_add_f16_e32 v27, v28, v27
	v_fma_f16 v28, v64, s24, v133
	v_fma_f16 v174, v68, s19, v173
	v_add_f16_e32 v27, v28, v27
	v_fma_f16 v28, v65, s33, v134
	v_add_f16_e32 v171, v174, v171
	v_mul_f16_e32 v174, 0x35c8, v101
	v_add_f16_e32 v27, v28, v27
	v_fma_f16 v28, v66, s7, -v135
	v_fma_f16 v175, v69, s6, v174
	v_add_f16_e32 v28, v26, v28
	v_fma_f16 v29, v67, s19, -v136
	v_add_f16_e32 v171, v175, v171
	v_mul_f16_e32 v175, 0xbb29, v103
	v_add_f16_e32 v28, v29, v28
	v_fma_f16 v29, v68, s6, -v137
	v_fma_f16 v176, v70, s18, v175
	v_add_f16_e32 v28, v29, v28
	v_fma_f16 v29, v69, s5, -v138
	;; [unrolled: 7-line block ×4, first 2 shown]
	v_add_f16_e32 v171, v178, v171
	v_mul_f16_e32 v178, 0x3964, v109
	v_add_f16_e32 v28, v29, v28
	v_fma_f16 v29, v17, s31, v143
	v_fma_f16 v179, v74, s16, v178
	v_add_f16_e32 v29, v48, v29
	v_fma_f16 v30, v58, s23, v145
	v_add_f16_e32 v171, v179, v171
	v_mul_f16_e32 v179, 0x3722, v79
	v_add_f16_e32 v29, v30, v29
	v_fma_f16 v30, v60, s35, v146
	v_fma_f16 v180, v17, s33, v179
	v_mul_f16_e32 v181, 0xb8d2, v81
	v_add_f16_e32 v29, v30, v29
	v_fma_f16 v30, v61, s22, v147
	v_add_f16_e32 v180, v48, v180
	v_fma_f16 v182, v58, s34, v181
	;; [unrolled: 2-line block ×3, first 2 shown]
	v_add_f16_e32 v180, v182, v180
	v_mul_f16_e32 v182, 0xbbdd, v83
	v_add_f16_e32 v29, v30, v29
	v_fma_f16 v30, v63, s36, v149
	v_fma_f16 v183, v60, s24, v182
	v_add_f16_e32 v29, v30, v29
	v_fma_f16 v30, v64, s17, v150
	v_add_f16_e32 v180, v183, v180
	v_mul_f16_e32 v183, 0xb461, v85
	v_add_f16_e32 v29, v30, v29
	v_fma_f16 v30, v65, s29, v151
	v_fma_f16 v184, v61, s31, v183
	v_add_f16_e32 v29, v30, v29
	v_fma_f16 v30, v66, s19, -v152
	v_add_f16_e32 v180, v184, v180
	v_mul_f16_e32 v184, 0x39e9, v87
	v_add_f16_e32 v30, v26, v30
	v_fma_f16 v31, v67, s5, -v154
	v_fma_f16 v185, v62, s20, v184
	v_add_f16_e32 v30, v31, v30
	v_fma_f16 v31, v68, s16, -v155
	v_add_f16_e32 v180, v185, v180
	v_mul_f16_e32 v185, 0x3b76, v89
	v_add_f16_e32 v30, v31, v30
	v_fma_f16 v31, v69, s18, -v156
	;; [unrolled: 7-line block ×4, first 2 shown]
	v_fma_f16 v188, v65, s23, v187
	v_add_f16_e32 v30, v31, v30
	v_fma_f16 v31, v17, s25, v161
	v_add_f16_e32 v180, v188, v180
	v_mul_f16_e32 v188, 0xbb29, v95
	v_add_f16_e32 v31, v48, v31
	v_fma_f16 v32, v58, s24, v163
	v_fma_f16 v189, v66, s18, v188
	v_mul_f16_e32 v190, 0xba62, v97
	v_add_f16_e32 v31, v32, v31
	v_fma_f16 v32, v60, s28, v164
	v_add_f16_e32 v189, v26, v189
	v_fma_f16 v191, v67, s7, v190
	;; [unrolled: 2-line block ×3, first 2 shown]
	v_add_f16_e32 v189, v191, v189
	v_mul_f16_e32 v191, 0x31e1, v99
	v_add_f16_e32 v31, v32, v31
	v_fma_f16 v32, v62, s22, v166
	v_fma_f16 v192, v68, s4, v191
	v_add_f16_e32 v31, v32, v31
	v_fma_f16 v32, v63, s26, v167
	v_add_f16_e32 v189, v192, v189
	v_mul_f16_e32 v192, 0x3bb2, v101
	v_add_f16_e32 v31, v32, v31
	v_fma_f16 v32, v64, s34, v168
	v_fma_f16 v193, v69, s19, v192
	v_add_f16_e32 v31, v32, v31
	v_fma_f16 v32, v65, s35, v169
	v_add_f16_e32 v189, v193, v189
	v_mul_f16_e32 v193, 0x3964, v103
	v_add_f16_e32 v31, v32, v31
	v_fma_f16 v32, v66, s21, -v170
	v_fma_f16 v194, v70, s16, v193
	v_add_f16_e32 v32, v26, v32
	v_fma_f16 v33, v67, s4, -v172
	v_add_f16_e32 v189, v194, v189
	v_mul_f16_e32 v194, 0xb5c8, v105
	v_add_f16_e32 v32, v33, v32
	v_fma_f16 v33, v68, s19, -v173
	v_fma_f16 v195, v72, s6, v194
	v_add_f16_e32 v32, v33, v32
	v_fma_f16 v33, v69, s6, -v174
	;; [unrolled: 7-line block ×4, first 2 shown]
	v_add_f16_e32 v189, v197, v189
	v_mul_f16_e32 v197, 0x39e9, v79
	v_add_f16_e32 v32, v33, v32
	v_fma_f16 v33, v17, s22, v179
	v_fma_f16 v198, v17, s35, v197
	v_mul_f16_e32 v199, 0x2de8, v81
	v_add_f16_e32 v33, v48, v33
	v_fma_f16 v34, v58, s29, v181
	v_add_f16_e32 v198, v48, v198
	v_fma_f16 v200, v58, s36, v199
	;; [unrolled: 2-line block ×3, first 2 shown]
	v_add_f16_e32 v198, v200, v198
	v_mul_f16_e32 v200, 0xb8d2, v83
	v_add_f16_e32 v33, v34, v33
	v_fma_f16 v34, v61, s28, v183
	v_fma_f16 v201, v60, s34, v200
	v_add_f16_e32 v33, v34, v33
	v_fma_f16 v34, v62, s35, v184
	v_add_f16_e32 v198, v201, v198
	v_mul_f16_e32 v201, 0xbbdd, v85
	v_add_f16_e32 v33, v34, v33
	v_fma_f16 v34, v63, s17, v185
	v_fma_f16 v202, v61, s27, v201
	v_add_f16_e32 v33, v34, v33
	v_fma_f16 v34, v64, s25, v186
	v_add_f16_e32 v198, v202, v198
	v_mul_f16_e32 v202, 0xbacd, v87
	v_add_f16_e32 v33, v34, v33
	v_fma_f16 v34, v65, s26, v187
	v_fma_f16 v203, v62, s26, v202
	v_add_f16_e32 v20, v21, v20
	v_add_f16_e32 v21, v49, v48
	v_add_f16_e32 v33, v34, v33
	v_fma_f16 v34, v66, s18, -v188
	v_add_f16_e32 v198, v203, v198
	v_mul_f16_e32 v203, 0xb461, v89
	v_add_f16_e32 v21, v50, v21
	v_add_f16_e32 v34, v26, v34
	v_fma_f16 v35, v67, s7, -v190
	v_fma_f16 v204, v63, s31, v203
	v_add_f16_e32 v21, v51, v21
	v_add_f16_e32 v34, v35, v34
	v_fma_f16 v35, v68, s4, -v191
	v_add_f16_e32 v198, v204, v198
	v_mul_f16_e32 v204, 0x3722, v91
	v_add_f16_e32 v21, v52, v21
	v_add_f16_e32 v34, v35, v34
	v_fma_f16 v35, v69, s19, -v192
	v_fma_f16 v205, v64, s22, v204
	v_add_f16_e32 v21, v53, v21
	v_add_f16_e32 v34, v35, v34
	;; [unrolled: 9-line block ×3, first 2 shown]
	v_fma_f16 v35, v73, s21, -v195
	v_add_f16_e32 v198, v206, v198
	v_mul_f16_e32 v206, 0xb964, v95
	v_add_f16_e32 v21, v56, v21
	v_add_f16_e32 v34, v35, v34
	v_fma_f16 v35, v74, s5, -v196
	v_fma_f16 v207, v66, s16, v206
	v_mul_f16_e32 v208, 0xbbf7, v97
	v_add_f16_e32 v21, v57, v21
	v_add_f16_e32 v34, v35, v34
	v_fma_f16 v35, v17, s20, v197
	v_add_f16_e32 v207, v26, v207
	v_fma_f16 v209, v67, s21, v208
	v_add_f16_e32 v21, v37, v21
	v_add_f16_e32 v35, v48, v35
	v_fma_f16 v37, v58, s25, v199
	v_add_f16_e32 v207, v209, v207
	v_mul_f16_e32 v209, 0xba62, v99
	v_add_f16_e32 v35, v37, v35
	v_fma_f16 v37, v60, s29, v200
	v_fma_f16 v210, v68, s7, v209
	v_add_f16_e32 v35, v37, v35
	v_fma_f16 v37, v61, s24, v201
	v_add_f16_e32 v207, v210, v207
	v_mul_f16_e32 v210, 0xb1e1, v101
	v_add_f16_e32 v21, v42, v21
	v_add_f16_e32 v35, v37, v35
	v_fma_f16 v37, v62, s23, v202
	v_fma_f16 v211, v69, s4, v210
	v_add_f16_e32 v21, v44, v21
	v_add_f16_e32 v35, v37, v35
	v_fma_f16 v37, v63, s28, v203
	v_add_f16_e32 v207, v211, v207
	v_mul_f16_e32 v211, 0x3836, v103
	v_add_f16_e32 v21, v43, v21
	v_add_f16_e32 v35, v37, v35
	v_fma_f16 v37, v64, s33, v204
	v_fma_f16 v212, v70, s5, v211
	v_add_f16_e32 v21, v40, v21
	v_add_f16_e32 v35, v37, v35
	v_fma_f16 v37, v65, s30, v205
	v_add_f16_e32 v207, v212, v207
	v_mul_f16_e32 v212, 0x3bb2, v105
	v_add_f16_e32 v21, v39, v21
	v_add_f16_e32 v35, v37, v35
	v_fma_f16 v37, v66, s16, -v206
	v_fma_f16 v213, v72, s19, v212
	v_add_f16_e32 v21, v38, v21
	v_add_f16_e32 v37, v26, v37
	v_fma_f16 v38, v67, s21, -v208
	v_add_f16_e32 v207, v213, v207
	v_mul_f16_e32 v213, 0x3b29, v107
	v_add_f16_e32 v37, v38, v37
	v_fma_f16 v38, v68, s7, -v209
	v_fma_f16 v214, v73, s18, v213
	v_add_f16_e32 v37, v38, v37
	v_fma_f16 v38, v69, s4, -v210
	v_add_f16_e32 v207, v214, v207
	v_mul_f16_e32 v214, 0x35c8, v109
	v_add_f16_e32 v37, v38, v37
	v_fma_f16 v38, v70, s5, -v211
	v_fma_f16 v215, v74, s6, v214
	v_mul_f16_e32 v79, 0x3b76, v79
	v_add_f16_e32 v37, v38, v37
	v_fma_f16 v38, v72, s19, -v212
	v_add_f16_e32 v207, v215, v207
	v_fma_f16 v215, v17, s30, v79
	v_mul_f16_e32 v81, 0x39e9, v81
	v_add_f16_e32 v37, v38, v37
	v_fma_f16 v38, v73, s18, -v213
	v_add_f16_e32 v215, v48, v215
	v_fma_f16 v216, v58, s35, v81
	v_mul_f16_e32 v83, 0x3722, v83
	v_add_f16_e32 v37, v38, v37
	v_fma_f16 v38, v74, s6, -v214
	v_fma_f16 v17, v17, s17, v79
	v_add_f16_e32 v215, v216, v215
	v_fma_f16 v216, v60, s33, v83
	v_mul_f16_e32 v85, 0x2de8, v85
	v_add_f16_e32 v37, v38, v37
	v_add_f16_e32 v17, v48, v17
	v_fma_f16 v38, v58, s20, v81
	v_add_f16_e32 v215, v216, v215
	v_fma_f16 v216, v61, s36, v85
	v_mul_f16_e32 v87, 0xb461, v87
	v_add_f16_e32 v17, v38, v17
	v_fma_f16 v38, v60, s22, v83
	v_add_f16_e32 v215, v216, v215
	v_fma_f16 v216, v62, s28, v87
	v_mul_f16_e32 v89, 0xb8d2, v89
	;; [unrolled: 5-line block ×7, first 2 shown]
	v_add_f16_e32 v17, v38, v17
	v_fma_f16 v38, v66, s6, -v95
	v_add_f16_e32 v216, v217, v216
	v_fma_f16 v217, v68, s18, v99
	v_mul_f16_e32 v101, 0xbbf7, v101
	v_add_f16_e32 v26, v26, v38
	v_fma_f16 v38, v67, s16, -v97
	v_add_f16_e32 v216, v217, v216
	v_fma_f16 v217, v69, s21, v101
	v_mul_f16_e32 v103, 0xbbb2, v103
	v_add_f16_e32 v26, v38, v26
	v_fma_f16 v38, v68, s18, -v99
	v_add_f16_e32 v216, v217, v216
	v_fma_f16 v217, v70, s19, v103
	v_mul_f16_e32 v105, 0xba62, v105
	v_add_f16_e32 v26, v38, v26
	v_fma_f16 v38, v69, s21, -v101
	v_add_f16_e32 v216, v217, v216
	v_fma_f16 v217, v72, s7, v105
	v_mul_f16_e32 v107, 0xb836, v107
	v_add_f16_e32 v26, v38, v26
	v_fma_f16 v38, v70, s19, -v103
	v_add_f16_e32 v216, v217, v216
	v_fma_f16 v217, v73, s5, v107
	v_mul_f16_e32 v109, 0xb1e1, v109
	v_add_f16_e32 v26, v38, v26
	v_fma_f16 v38, v72, s7, -v105
	v_add_f16_e32 v216, v217, v216
	v_fma_f16 v217, v74, s4, v109
	v_add_f16_e32 v26, v38, v26
	v_fma_f16 v38, v73, s5, -v107
	v_add_f16_e32 v216, v217, v216
	v_add_f16_e32 v20, v41, v20
	;; [unrolled: 1-line block ×3, first 2 shown]
	v_fma_f16 v38, v74, s4, -v109
	v_add_f16_e32 v26, v38, v26
	v_lshlrev_b32_e32 v36, 2, v36
	v_pack_b32_f16 v38, v216, v215
	v_pack_b32_f16 v20, v20, v21
	ds_write2_b32 v36, v20, v38 offset1:1
	v_pack_b32_f16 v20, v189, v180
	v_pack_b32_f16 v21, v207, v198
	ds_write2_b32 v36, v21, v20 offset0:2 offset1:3
	v_pack_b32_f16 v20, v153, v144
	v_pack_b32_f16 v21, v171, v162
	ds_write2_b32 v36, v21, v20 offset0:4 offset1:5
	;; [unrolled: 3-line block ×6, first 2 shown]
	v_pack_b32_f16 v20, v37, v35
	v_pack_b32_f16 v21, v34, v33
	;; [unrolled: 1-line block ×3, first 2 shown]
	ds_write2_b32 v36, v21, v20 offset0:14 offset1:15
	ds_write_b32 v36, v17 offset:64
.LBB0_13:
	s_or_b64 exec, exec, s[0:1]
	s_waitcnt lgkmcnt(0)
	s_barrier
	ds_read2_b32 v[22:23], v16 offset1:170
	v_add_u32_e32 v21, 0x400, v16
	ds_read2_b32 v[24:25], v21 offset0:84 offset1:254
	v_add_u32_e32 v17, 0xa00, v16
	ds_read2_b32 v[26:27], v17 offset0:40 offset1:210
	s_waitcnt lgkmcnt(2)
	v_lshrrev_b32_e32 v33, 16, v23
	v_mul_f16_sdwa v43, v0, v33 dst_sel:DWORD dst_unused:UNUSED_PAD src0_sel:WORD_1 src1_sel:DWORD
	s_waitcnt lgkmcnt(1)
	v_lshrrev_b32_e32 v34, 16, v24
	v_fma_f16 v43, v0, v23, v43
	v_mul_f16_sdwa v23, v0, v23 dst_sel:DWORD dst_unused:UNUSED_PAD src0_sel:WORD_1 src1_sel:DWORD
	v_fma_f16 v0, v0, v33, -v23
	v_mul_f16_sdwa v23, v1, v34 dst_sel:DWORD dst_unused:UNUSED_PAD src0_sel:WORD_1 src1_sel:DWORD
	v_lshrrev_b32_e32 v35, 16, v25
	v_add_u32_e32 v36, 0xf00, v16
	v_fma_f16 v23, v1, v24, v23
	v_mul_f16_sdwa v24, v1, v24 dst_sel:DWORD dst_unused:UNUSED_PAD src0_sel:WORD_1 src1_sel:DWORD
	ds_read2_b32 v[28:29], v36 offset0:60 offset1:230
	v_fma_f16 v1, v1, v34, -v24
	v_mul_f16_sdwa v24, v2, v35 dst_sel:DWORD dst_unused:UNUSED_PAD src0_sel:WORD_1 src1_sel:DWORD
	s_waitcnt lgkmcnt(1)
	v_lshrrev_b32_e32 v37, 16, v26
	v_fma_f16 v24, v2, v25, v24
	v_mul_f16_sdwa v25, v2, v25 dst_sel:DWORD dst_unused:UNUSED_PAD src0_sel:WORD_1 src1_sel:DWORD
	v_fma_f16 v2, v2, v35, -v25
	v_mul_f16_sdwa v25, v3, v37 dst_sel:DWORD dst_unused:UNUSED_PAD src0_sel:WORD_1 src1_sel:DWORD
	v_add_u32_e32 v20, 0x1400, v16
	v_lshrrev_b32_e32 v38, 16, v27
	v_fma_f16 v25, v3, v26, v25
	v_mul_f16_sdwa v26, v3, v26 dst_sel:DWORD dst_unused:UNUSED_PAD src0_sel:WORD_1 src1_sel:DWORD
	ds_read2_b32 v[30:31], v20 offset0:80 offset1:250
	v_fma_f16 v3, v3, v37, -v26
	v_mul_f16_sdwa v26, v4, v38 dst_sel:DWORD dst_unused:UNUSED_PAD src0_sel:WORD_1 src1_sel:DWORD
	s_waitcnt lgkmcnt(1)
	v_lshrrev_b32_e32 v39, 16, v28
	v_fma_f16 v26, v4, v27, v26
	v_mul_f16_sdwa v27, v4, v27 dst_sel:DWORD dst_unused:UNUSED_PAD src0_sel:WORD_1 src1_sel:DWORD
	v_fma_f16 v4, v4, v38, -v27
	v_mul_f16_sdwa v27, v5, v39 dst_sel:DWORD dst_unused:UNUSED_PAD src0_sel:WORD_1 src1_sel:DWORD
	v_lshrrev_b32_e32 v40, 16, v29
	v_fma_f16 v27, v5, v28, v27
	v_mul_f16_sdwa v28, v5, v28 dst_sel:DWORD dst_unused:UNUSED_PAD src0_sel:WORD_1 src1_sel:DWORD
	v_fma_f16 v5, v5, v39, -v28
	v_mul_f16_sdwa v28, v6, v40 dst_sel:DWORD dst_unused:UNUSED_PAD src0_sel:WORD_1 src1_sel:DWORD
	s_waitcnt lgkmcnt(0)
	v_lshrrev_b32_e32 v41, 16, v30
	v_fma_f16 v28, v6, v29, v28
	v_mul_f16_sdwa v29, v6, v29 dst_sel:DWORD dst_unused:UNUSED_PAD src0_sel:WORD_1 src1_sel:DWORD
	v_fma_f16 v6, v6, v40, -v29
	v_mul_f16_sdwa v29, v7, v41 dst_sel:DWORD dst_unused:UNUSED_PAD src0_sel:WORD_1 src1_sel:DWORD
	v_fma_f16 v29, v7, v30, v29
	v_mul_f16_sdwa v30, v7, v30 dst_sel:DWORD dst_unused:UNUSED_PAD src0_sel:WORD_1 src1_sel:DWORD
	v_fma_f16 v7, v7, v41, -v30
	v_add_f16_e32 v34, v25, v27
	v_fma_f16 v34, v34, -0.5, v22
	v_sub_f16_e32 v35, v1, v7
	s_mov_b32 s6, 0xbb9c
	s_movk_i32 s1, 0x3b9c
	v_fma_f16 v37, v35, s6, v34
	v_sub_f16_e32 v38, v3, v5
	s_mov_b32 s5, 0xb8b4
	v_sub_f16_e32 v39, v23, v25
	v_sub_f16_e32 v40, v29, v27
	v_fma_f16 v34, v35, s1, v34
	s_movk_i32 s0, 0x38b4
	v_fma_f16 v37, v38, s5, v37
	v_add_f16_e32 v39, v39, v40
	s_movk_i32 s4, 0x34f2
	v_fma_f16 v34, v38, s0, v34
	v_fma_f16 v37, v39, s4, v37
	;; [unrolled: 1-line block ×3, first 2 shown]
	v_add_f16_e32 v39, v23, v29
	v_lshrrev_b32_e32 v32, 16, v22
	v_add_f16_e32 v33, v22, v23
	v_fma_f16 v22, v39, -0.5, v22
	v_add_f16_e32 v33, v33, v25
	v_fma_f16 v39, v38, s1, v22
	v_fma_f16 v22, v38, s6, v22
	v_add_f16_e32 v38, v3, v5
	v_add_f16_e32 v33, v33, v27
	v_sub_f16_e32 v40, v25, v23
	v_sub_f16_e32 v41, v27, v29
	v_fma_f16 v38, v38, -0.5, v32
	v_sub_f16_e32 v23, v23, v29
	v_add_f16_e32 v33, v33, v29
	v_fma_f16 v39, v35, s5, v39
	v_add_f16_e32 v40, v40, v41
	v_fma_f16 v22, v35, s0, v22
	v_fma_f16 v29, v23, s1, v38
	v_sub_f16_e32 v25, v25, v27
	v_fma_f16 v39, v40, s4, v39
	v_fma_f16 v22, v40, s4, v22
	;; [unrolled: 1-line block ×3, first 2 shown]
	v_sub_f16_e32 v29, v1, v3
	v_sub_f16_e32 v40, v7, v5
	v_fma_f16 v38, v23, s6, v38
	v_lshrrev_b32_e32 v42, 16, v31
	v_add_f16_e32 v35, v32, v1
	v_add_f16_e32 v29, v29, v40
	v_fma_f16 v38, v25, s5, v38
	v_mul_f16_sdwa v30, v45, v42 dst_sel:DWORD dst_unused:UNUSED_PAD src0_sel:WORD_1 src1_sel:DWORD
	v_add_f16_e32 v35, v35, v3
	v_fma_f16 v27, v29, s4, v27
	v_fma_f16 v29, v29, s4, v38
	v_add_f16_e32 v38, v1, v7
	v_fma_f16 v30, v45, v31, v30
	v_mul_f16_sdwa v31, v45, v31 dst_sel:DWORD dst_unused:UNUSED_PAD src0_sel:WORD_1 src1_sel:DWORD
	v_add_f16_e32 v35, v35, v5
	v_fma_f16 v32, v38, -0.5, v32
	v_fma_f16 v31, v45, v42, -v31
	v_add_f16_e32 v35, v35, v7
	v_fma_f16 v38, v25, s6, v32
	v_sub_f16_e32 v1, v3, v1
	v_sub_f16_e32 v3, v5, v7
	v_fma_f16 v5, v25, s1, v32
	v_add_f16_e32 v7, v26, v28
	v_fma_f16 v38, v23, s0, v38
	v_add_f16_e32 v1, v1, v3
	v_fma_f16 v5, v23, s5, v5
	v_fma_f16 v7, v7, -0.5, v43
	v_sub_f16_e32 v23, v2, v31
	v_fma_f16 v3, v1, s4, v38
	v_fma_f16 v25, v23, s6, v7
	v_sub_f16_e32 v32, v4, v6
	v_sub_f16_e32 v38, v24, v26
	;; [unrolled: 1-line block ×3, first 2 shown]
	v_fma_f16 v7, v23, s1, v7
	v_fma_f16 v25, v32, s5, v25
	v_add_f16_e32 v38, v38, v40
	v_fma_f16 v7, v32, s0, v7
	v_fma_f16 v25, v38, s4, v25
	;; [unrolled: 1-line block ×3, first 2 shown]
	v_add_f16_e32 v38, v24, v30
	v_fma_f16 v1, v1, s4, v5
	v_add_f16_e32 v5, v43, v24
	v_fma_f16 v38, v38, -0.5, v43
	v_add_f16_e32 v5, v5, v26
	v_fma_f16 v40, v32, s1, v38
	v_fma_f16 v32, v32, s6, v38
	v_add_f16_e32 v38, v4, v6
	v_add_f16_e32 v5, v5, v28
	v_sub_f16_e32 v41, v26, v24
	v_sub_f16_e32 v42, v28, v30
	v_fma_f16 v38, v38, -0.5, v0
	v_sub_f16_e32 v24, v24, v30
	v_add_f16_e32 v5, v5, v30
	v_fma_f16 v40, v23, s5, v40
	v_add_f16_e32 v41, v41, v42
	v_fma_f16 v23, v23, s0, v32
	v_fma_f16 v30, v24, s1, v38
	v_sub_f16_e32 v26, v26, v28
	v_fma_f16 v40, v41, s4, v40
	v_fma_f16 v23, v41, s4, v23
	;; [unrolled: 1-line block ×3, first 2 shown]
	v_sub_f16_e32 v30, v2, v4
	v_sub_f16_e32 v41, v31, v6
	v_fma_f16 v38, v24, s6, v38
	v_add_f16_e32 v30, v30, v41
	v_fma_f16 v38, v26, s5, v38
	v_fma_f16 v28, v30, s4, v28
	;; [unrolled: 1-line block ×3, first 2 shown]
	v_add_f16_e32 v38, v2, v31
	v_add_f16_e32 v32, v0, v2
	v_fma_f16 v0, v38, -0.5, v0
	v_add_f16_e32 v32, v32, v4
	v_fma_f16 v38, v26, s6, v0
	v_sub_f16_e32 v2, v4, v2
	v_sub_f16_e32 v4, v6, v31
	v_fma_f16 v0, v26, s1, v0
	v_fma_f16 v38, v24, s0, v38
	v_add_f16_e32 v2, v2, v4
	v_fma_f16 v0, v24, s5, v0
	v_add_f16_e32 v32, v32, v6
	v_fma_f16 v4, v2, s4, v38
	v_fma_f16 v0, v2, s4, v0
	v_mul_f16_e32 v6, 0xb8b4, v28
	s_movk_i32 s7, 0x3a79
	v_mul_f16_e32 v28, 0x3a79, v28
	v_add_f16_e32 v32, v32, v31
	v_fma_f16 v6, v25, s7, v6
	v_mul_f16_e32 v26, 0xbb9c, v4
	v_mul_f16_e32 v38, 0xbb9c, v0
	s_mov_b32 s16, 0xb4f2
	v_fma_f16 v25, v25, s0, v28
	v_mul_f16_e32 v4, 0x34f2, v4
	v_mul_f16_e32 v0, 0xb4f2, v0
	v_add_f16_e32 v2, v33, v5
	v_add_f16_e32 v24, v37, v6
	v_fma_f16 v26, v40, s4, v26
	v_fma_f16 v38, v23, s16, v38
	v_mul_f16_e32 v42, 0xb8b4, v30
	s_mov_b32 s17, 0xba79
	v_add_f16_e32 v44, v35, v32
	v_add_f16_e32 v28, v27, v25
	v_fma_f16 v4, v40, s1, v4
	v_fma_f16 v0, v23, s1, v0
	v_mul_f16_e32 v30, 0xba79, v30
	v_add_f16_e32 v31, v39, v26
	v_add_f16_e32 v41, v22, v38
	v_fma_f16 v42, v7, s17, v42
	v_add_f16_e32 v40, v3, v4
	v_add_f16_e32 v23, v1, v0
	v_fma_f16 v7, v7, s0, v30
	v_sub_f16_e32 v3, v3, v4
	v_pack_b32_f16 v2, v2, v44
	v_pack_b32_f16 v4, v24, v28
	v_add_f16_e32 v43, v34, v42
	v_add_f16_e32 v30, v29, v7
	v_sub_f16_e32 v5, v33, v5
	v_sub_f16_e32 v32, v35, v32
	s_barrier
	ds_write2_b32 v46, v2, v4 offset1:17
	v_pack_b32_f16 v2, v31, v40
	v_pack_b32_f16 v4, v41, v23
	v_sub_f16_e32 v6, v37, v6
	v_sub_f16_e32 v26, v39, v26
	v_sub_f16_e32 v22, v22, v38
	v_sub_f16_e32 v33, v34, v42
	v_sub_f16_e32 v25, v27, v25
	v_sub_f16_e32 v0, v1, v0
	v_sub_f16_e32 v1, v29, v7
	ds_write2_b32 v46, v2, v4 offset0:34 offset1:51
	v_pack_b32_f16 v2, v43, v30
	v_pack_b32_f16 v4, v5, v32
	ds_write2_b32 v46, v2, v4 offset0:68 offset1:85
	v_pack_b32_f16 v2, v6, v25
	v_pack_b32_f16 v3, v26, v3
	;; [unrolled: 1-line block ×4, first 2 shown]
	ds_write2_b32 v46, v2, v3 offset0:102 offset1:119
	ds_write2_b32 v46, v0, v1 offset0:136 offset1:153
	s_waitcnt lgkmcnt(0)
	s_barrier
	ds_read2_b32 v[0:1], v16 offset1:170
	ds_read2_b32 v[2:3], v21 offset0:84 offset1:254
	ds_read2_b32 v[4:5], v17 offset0:40 offset1:210
	;; [unrolled: 1-line block ×4, first 2 shown]
	s_waitcnt lgkmcnt(4)
	v_lshrrev_b32_e32 v25, 16, v1
	v_mul_f16_sdwa v34, v8, v25 dst_sel:DWORD dst_unused:UNUSED_PAD src0_sel:WORD_1 src1_sel:DWORD
	s_waitcnt lgkmcnt(3)
	v_lshrrev_b32_e32 v26, 16, v2
	v_fma_f16 v34, v8, v1, v34
	v_mul_f16_sdwa v1, v8, v1 dst_sel:DWORD dst_unused:UNUSED_PAD src0_sel:WORD_1 src1_sel:DWORD
	v_fma_f16 v1, v8, v25, -v1
	v_mul_f16_sdwa v8, v9, v26 dst_sel:DWORD dst_unused:UNUSED_PAD src0_sel:WORD_1 src1_sel:DWORD
	v_lshrrev_b32_e32 v27, 16, v3
	v_fma_f16 v8, v9, v2, v8
	v_mul_f16_sdwa v2, v9, v2 dst_sel:DWORD dst_unused:UNUSED_PAD src0_sel:WORD_1 src1_sel:DWORD
	v_fma_f16 v2, v9, v26, -v2
	v_mul_f16_sdwa v9, v10, v27 dst_sel:DWORD dst_unused:UNUSED_PAD src0_sel:WORD_1 src1_sel:DWORD
	s_waitcnt lgkmcnt(2)
	v_lshrrev_b32_e32 v28, 16, v4
	v_fma_f16 v9, v10, v3, v9
	v_mul_f16_sdwa v3, v10, v3 dst_sel:DWORD dst_unused:UNUSED_PAD src0_sel:WORD_1 src1_sel:DWORD
	v_fma_f16 v3, v10, v27, -v3
	v_mul_f16_sdwa v10, v11, v28 dst_sel:DWORD dst_unused:UNUSED_PAD src0_sel:WORD_1 src1_sel:DWORD
	v_lshrrev_b32_e32 v29, 16, v5
	v_fma_f16 v10, v11, v4, v10
	v_mul_f16_sdwa v4, v11, v4 dst_sel:DWORD dst_unused:UNUSED_PAD src0_sel:WORD_1 src1_sel:DWORD
	v_fma_f16 v4, v11, v28, -v4
	v_mul_f16_sdwa v11, v12, v29 dst_sel:DWORD dst_unused:UNUSED_PAD src0_sel:WORD_1 src1_sel:DWORD
	s_waitcnt lgkmcnt(1)
	v_lshrrev_b32_e32 v30, 16, v6
	v_fma_f16 v11, v12, v5, v11
	v_mul_f16_sdwa v5, v12, v5 dst_sel:DWORD dst_unused:UNUSED_PAD src0_sel:WORD_1 src1_sel:DWORD
	v_fma_f16 v5, v12, v29, -v5
	v_mul_f16_sdwa v12, v13, v30 dst_sel:DWORD dst_unused:UNUSED_PAD src0_sel:WORD_1 src1_sel:DWORD
	v_lshrrev_b32_e32 v31, 16, v7
	v_fma_f16 v12, v13, v6, v12
	v_mul_f16_sdwa v6, v13, v6 dst_sel:DWORD dst_unused:UNUSED_PAD src0_sel:WORD_1 src1_sel:DWORD
	v_fma_f16 v6, v13, v30, -v6
	v_mul_f16_sdwa v13, v14, v31 dst_sel:DWORD dst_unused:UNUSED_PAD src0_sel:WORD_1 src1_sel:DWORD
	s_waitcnt lgkmcnt(0)
	v_lshrrev_b32_e32 v32, 16, v22
	v_fma_f16 v13, v14, v7, v13
	v_mul_f16_sdwa v7, v14, v7 dst_sel:DWORD dst_unused:UNUSED_PAD src0_sel:WORD_1 src1_sel:DWORD
	v_fma_f16 v7, v14, v31, -v7
	v_mul_f16_sdwa v14, v15, v32 dst_sel:DWORD dst_unused:UNUSED_PAD src0_sel:WORD_1 src1_sel:DWORD
	v_fma_f16 v14, v15, v22, v14
	v_mul_f16_sdwa v22, v15, v22 dst_sel:DWORD dst_unused:UNUSED_PAD src0_sel:WORD_1 src1_sel:DWORD
	v_fma_f16 v15, v15, v32, -v22
	v_add_f16_e32 v26, v10, v12
	v_fma_f16 v26, v26, -0.5, v0
	v_sub_f16_e32 v27, v2, v15
	v_fma_f16 v28, v27, s6, v26
	v_sub_f16_e32 v29, v4, v6
	v_sub_f16_e32 v30, v8, v10
	;; [unrolled: 1-line block ×3, first 2 shown]
	v_fma_f16 v26, v27, s1, v26
	v_fma_f16 v28, v29, s5, v28
	v_add_f16_e32 v30, v30, v31
	v_fma_f16 v26, v29, s0, v26
	v_fma_f16 v28, v30, s4, v28
	;; [unrolled: 1-line block ×3, first 2 shown]
	v_add_f16_e32 v30, v8, v14
	v_lshrrev_b32_e32 v24, 16, v0
	v_add_f16_e32 v25, v0, v8
	v_fma_f16 v0, v30, -0.5, v0
	v_add_f16_e32 v25, v25, v10
	v_fma_f16 v30, v29, s1, v0
	v_fma_f16 v0, v29, s6, v0
	v_add_f16_e32 v29, v4, v6
	v_add_f16_e32 v25, v25, v12
	v_sub_f16_e32 v31, v10, v8
	v_sub_f16_e32 v32, v12, v14
	v_fma_f16 v29, v29, -0.5, v24
	v_sub_f16_e32 v8, v8, v14
	v_add_f16_e32 v25, v25, v14
	v_fma_f16 v30, v27, s5, v30
	v_add_f16_e32 v31, v31, v32
	v_fma_f16 v0, v27, s0, v0
	v_fma_f16 v14, v8, s1, v29
	v_sub_f16_e32 v10, v10, v12
	v_fma_f16 v30, v31, s4, v30
	v_fma_f16 v0, v31, s4, v0
	;; [unrolled: 1-line block ×3, first 2 shown]
	v_sub_f16_e32 v14, v2, v4
	v_sub_f16_e32 v31, v15, v6
	v_fma_f16 v29, v8, s6, v29
	v_add_f16_e32 v14, v14, v31
	v_fma_f16 v29, v10, s5, v29
	v_lshrrev_b32_e32 v33, 16, v23
	v_add_f16_e32 v27, v24, v2
	v_fma_f16 v12, v14, s4, v12
	v_fma_f16 v14, v14, s4, v29
	v_add_f16_e32 v29, v2, v15
	v_mul_f16_sdwa v22, v47, v33 dst_sel:DWORD dst_unused:UNUSED_PAD src0_sel:WORD_1 src1_sel:DWORD
	v_add_f16_e32 v27, v27, v4
	v_fma_f16 v24, v29, -0.5, v24
	v_fma_f16 v22, v47, v23, v22
	v_mul_f16_sdwa v23, v47, v23 dst_sel:DWORD dst_unused:UNUSED_PAD src0_sel:WORD_1 src1_sel:DWORD
	v_add_f16_e32 v27, v27, v6
	v_fma_f16 v29, v10, s6, v24
	v_sub_f16_e32 v2, v4, v2
	v_sub_f16_e32 v4, v6, v15
	v_fma_f16 v6, v10, s1, v24
	v_fma_f16 v23, v47, v33, -v23
	v_fma_f16 v29, v8, s0, v29
	v_fma_f16 v6, v8, s5, v6
	v_add_f16_e32 v8, v11, v13
	v_add_f16_e32 v2, v2, v4
	v_fma_f16 v8, v8, -0.5, v34
	v_sub_f16_e32 v10, v3, v23
	v_add_f16_e32 v27, v27, v15
	v_fma_f16 v4, v2, s4, v29
	v_fma_f16 v15, v10, s6, v8
	v_sub_f16_e32 v24, v5, v7
	v_sub_f16_e32 v29, v9, v11
	v_sub_f16_e32 v31, v22, v13
	v_fma_f16 v8, v10, s1, v8
	v_fma_f16 v15, v24, s5, v15
	v_add_f16_e32 v29, v29, v31
	v_fma_f16 v8, v24, s0, v8
	v_fma_f16 v15, v29, s4, v15
	;; [unrolled: 1-line block ×3, first 2 shown]
	v_add_f16_e32 v29, v9, v22
	v_fma_f16 v2, v2, s4, v6
	v_add_f16_e32 v6, v34, v9
	v_fma_f16 v29, v29, -0.5, v34
	v_add_f16_e32 v6, v6, v11
	v_fma_f16 v31, v24, s1, v29
	v_fma_f16 v24, v24, s6, v29
	v_add_f16_e32 v29, v5, v7
	v_add_f16_e32 v6, v6, v13
	v_sub_f16_e32 v32, v11, v9
	v_sub_f16_e32 v33, v13, v22
	v_fma_f16 v29, v29, -0.5, v1
	v_sub_f16_e32 v9, v9, v22
	v_add_f16_e32 v6, v6, v22
	v_fma_f16 v31, v10, s5, v31
	v_add_f16_e32 v32, v32, v33
	v_fma_f16 v10, v10, s0, v24
	v_fma_f16 v22, v9, s1, v29
	v_sub_f16_e32 v11, v11, v13
	v_fma_f16 v31, v32, s4, v31
	v_fma_f16 v10, v32, s4, v10
	;; [unrolled: 1-line block ×3, first 2 shown]
	v_sub_f16_e32 v22, v3, v5
	v_sub_f16_e32 v32, v23, v7
	v_fma_f16 v29, v9, s6, v29
	v_add_f16_e32 v22, v22, v32
	v_fma_f16 v29, v11, s5, v29
	v_fma_f16 v13, v22, s4, v13
	;; [unrolled: 1-line block ×3, first 2 shown]
	v_add_f16_e32 v29, v3, v23
	v_add_f16_e32 v24, v1, v3
	v_fma_f16 v1, v29, -0.5, v1
	v_add_f16_e32 v24, v24, v5
	v_fma_f16 v29, v11, s6, v1
	v_sub_f16_e32 v3, v5, v3
	v_sub_f16_e32 v5, v7, v23
	v_fma_f16 v1, v11, s1, v1
	v_fma_f16 v29, v9, s0, v29
	v_add_f16_e32 v3, v3, v5
	v_fma_f16 v1, v9, s5, v1
	v_add_f16_e32 v24, v24, v7
	v_fma_f16 v5, v3, s4, v29
	v_fma_f16 v1, v3, s4, v1
	v_mul_f16_e32 v7, 0xb8b4, v13
	v_mul_f16_e32 v13, 0x3a79, v13
	v_add_f16_e32 v24, v24, v23
	v_fma_f16 v7, v15, s7, v7
	v_mul_f16_e32 v11, 0xbb9c, v5
	v_mul_f16_e32 v29, 0xbb9c, v1
	v_fma_f16 v13, v15, s0, v13
	v_mul_f16_e32 v5, 0x34f2, v5
	v_mul_f16_e32 v1, 0xb4f2, v1
	v_add_f16_e32 v3, v25, v6
	v_add_f16_e32 v9, v28, v7
	v_fma_f16 v11, v31, s4, v11
	v_fma_f16 v29, v10, s16, v29
	v_mul_f16_e32 v33, 0xb8b4, v22
	v_add_f16_e32 v35, v27, v24
	v_add_f16_e32 v15, v12, v13
	v_fma_f16 v5, v31, s1, v5
	v_fma_f16 v1, v10, s1, v1
	v_mul_f16_e32 v22, 0xba79, v22
	v_add_f16_e32 v23, v30, v11
	v_add_f16_e32 v32, v0, v29
	v_fma_f16 v33, v8, s17, v33
	v_add_f16_e32 v31, v4, v5
	v_add_f16_e32 v10, v2, v1
	v_fma_f16 v8, v8, s0, v22
	v_sub_f16_e32 v4, v4, v5
	v_pack_b32_f16 v3, v3, v35
	v_pack_b32_f16 v5, v9, v15
	v_add_f16_e32 v34, v26, v33
	v_add_f16_e32 v22, v14, v8
	v_sub_f16_e32 v6, v25, v6
	v_sub_f16_e32 v24, v27, v24
	ds_write2_b32 v16, v3, v5 offset1:170
	v_pack_b32_f16 v3, v23, v31
	v_pack_b32_f16 v5, v32, v10
	v_sub_f16_e32 v7, v28, v7
	v_sub_f16_e32 v11, v30, v11
	;; [unrolled: 1-line block ×7, first 2 shown]
	ds_write2_b32 v21, v3, v5 offset0:84 offset1:254
	v_pack_b32_f16 v3, v34, v22
	v_pack_b32_f16 v5, v6, v24
	ds_write2_b32 v17, v3, v5 offset0:40 offset1:210
	v_pack_b32_f16 v3, v7, v12
	v_pack_b32_f16 v4, v11, v4
	;; [unrolled: 1-line block ×4, first 2 shown]
	ds_write2_b32 v36, v3, v4 offset0:60 offset1:230
	ds_write2_b32 v20, v0, v1 offset0:80 offset1:250
	s_waitcnt lgkmcnt(0)
	s_barrier
	s_and_b64 exec, exec, s[2:3]
	s_cbranch_execz .LBB0_15
; %bb.14:
	global_load_dword v3, v16, s[12:13]
	ds_read_b32 v12, v16
	v_mad_u64_u32 v[4:5], s[0:1], s10, v18, 0
	v_mad_u64_u32 v[6:7], s[0:1], s8, v19, 0
	v_mov_b32_e32 v8, v5
	s_waitcnt lgkmcnt(0)
	v_lshrrev_b32_e32 v5, 16, v12
	v_mov_b32_e32 v10, v7
	v_mad_u64_u32 v[8:9], s[0:1], s11, v18, v[8:9]
	s_mov_b32 s6, 0xace01346
	s_mov_b32 s7, 0x3f434679
	v_mad_u64_u32 v[10:11], s[0:1], s9, v19, v[10:11]
	s_movk_i32 s16, 0x1ff
	v_mov_b32_e32 v1, s15
	s_movk_i32 s15, 0xffe
	v_mov_b32_e32 v2, 0x7c00
	;; [unrolled: 2-line block ×3, first 2 shown]
	s_mov_b32 s14, 0x8000
	s_mov_b32 s17, 0xffff
	s_mulk_i32 s9, 0x190
	s_waitcnt vmcnt(0)
	v_mul_f16_sdwa v7, v5, v3 dst_sel:DWORD dst_unused:UNUSED_PAD src0_sel:DWORD src1_sel:WORD_1
	v_mul_f16_sdwa v9, v12, v3 dst_sel:DWORD dst_unused:UNUSED_PAD src0_sel:DWORD src1_sel:WORD_1
	v_fma_f16 v7, v12, v3, v7
	v_fma_f16 v3, v3, v5, -v9
	v_cvt_f32_f16_e32 v9, v7
	v_cvt_f32_f16_e32 v3, v3
	v_mov_b32_e32 v5, v8
	v_mov_b32_e32 v7, v10
	v_cvt_f64_f32_e32 v[8:9], v9
	v_cvt_f64_f32_e32 v[10:11], v3
	v_mul_f64 v[8:9], v[8:9], s[6:7]
	v_mul_f64 v[10:11], v[10:11], s[6:7]
	v_and_or_b32 v3, v9, s16, v8
	v_and_or_b32 v10, v11, s16, v10
	v_cmp_ne_u32_e32 vcc, 0, v3
	v_lshrrev_b32_e32 v8, 8, v9
	v_bfe_u32 v12, v9, 20, 11
	v_cndmask_b32_e64 v3, 0, 1, vcc
	v_cmp_ne_u32_e32 vcc, 0, v10
	v_lshrrev_b32_e32 v13, 8, v11
	v_bfe_u32 v14, v11, 20, 11
	v_sub_u32_e32 v15, 0x3f1, v12
	v_cndmask_b32_e64 v10, 0, 1, vcc
	v_and_or_b32 v3, v8, s15, v3
	v_sub_u32_e32 v18, 0x3f1, v14
	v_med3_i32 v8, v15, 0, 13
	v_and_or_b32 v10, v13, s15, v10
	v_or_b32_e32 v15, 0x1000, v3
	v_add_u32_e32 v12, 0xfffffc10, v12
	v_med3_i32 v13, v18, 0, 13
	v_cmp_ne_u32_e32 vcc, 0, v3
	v_or_b32_e32 v19, 0x1000, v10
	v_lshrrev_b32_e32 v23, v8, v15
	v_add_u32_e32 v14, 0xfffffc10, v14
	v_lshl_or_b32 v18, v12, 12, v3
	v_cndmask_b32_e64 v3, 0, 1, vcc
	v_cmp_ne_u32_e32 vcc, 0, v10
	v_lshrrev_b32_e32 v24, v13, v19
	v_lshlrev_b32_e32 v8, v8, v23
	v_lshl_or_b32 v22, v14, 12, v10
	v_cndmask_b32_e64 v10, 0, 1, vcc
	v_lshlrev_b32_e32 v13, v13, v24
	v_cmp_ne_u32_e32 vcc, v8, v15
	v_lshl_or_b32 v3, v3, 9, v2
	v_lshl_or_b32 v10, v10, 9, v2
	v_cndmask_b32_e64 v8, 0, 1, vcc
	v_cmp_ne_u32_e32 vcc, v13, v19
	v_or_b32_e32 v8, v23, v8
	v_and_b32_sdwa v9, v9, s14 dst_sel:DWORD dst_unused:UNUSED_PAD src0_sel:WORD_1 src1_sel:DWORD
	v_cndmask_b32_e64 v13, 0, 1, vcc
	v_cmp_gt_i32_e32 vcc, 1, v12
	v_or_b32_e32 v13, v24, v13
	v_lshrrev_b32_e32 v11, 16, v11
	v_cndmask_b32_e32 v8, v18, v8, vcc
	v_cmp_gt_i32_e32 vcc, 1, v14
	v_and_b32_e32 v15, 7, v8
	v_cmp_eq_u32_e64 s[0:1], 3, v15
	v_cndmask_b32_e32 v13, v22, v13, vcc
	v_cmp_lt_i32_e32 vcc, 5, v15
	v_lshrrev_b32_e32 v8, 2, v8
	v_and_b32_e32 v18, 7, v13
	s_or_b64 vcc, s[0:1], vcc
	v_cmp_lt_i32_e64 s[2:3], 5, v18
	v_cmp_eq_u32_e64 s[4:5], 3, v18
	v_addc_co_u32_e32 v8, vcc, 0, v8, vcc
	v_lshrrev_b32_e32 v13, 2, v13
	s_or_b64 vcc, s[4:5], s[2:3]
	v_addc_co_u32_e32 v13, vcc, 0, v13, vcc
	v_cmp_gt_i32_e32 vcc, 31, v12
	v_lshl_add_u64 v[0:1], v[4:5], 2, v[0:1]
	v_lshl_add_u64 v[0:1], v[6:7], 2, v[0:1]
	v_cndmask_b32_e32 v8, v2, v8, vcc
	v_cmp_gt_i32_e32 vcc, 31, v14
	ds_read2_b32 v[4:5], v16 offset0:100 offset1:200
	s_waitcnt lgkmcnt(0)
	v_lshrrev_b32_e32 v7, 16, v4
	v_cndmask_b32_e32 v13, v2, v13, vcc
	v_cmp_eq_u32_e32 vcc, s10, v12
	s_nop 1
	v_cndmask_b32_e32 v3, v8, v3, vcc
	v_cmp_eq_u32_e32 vcc, s10, v14
	v_bitop3_b32 v3, v9, s17, v3 bitop3:0xc8
	s_nop 0
	v_cndmask_b32_e32 v8, v13, v10, vcc
	v_and_or_b32 v8, v11, s14, v8
	v_lshl_or_b32 v3, v8, 16, v3
	global_store_dword v[0:1], v3, off
	global_load_dword v6, v16, s[12:13] offset:400
	v_mov_b32_e32 v3, 0x190
	v_mad_u64_u32 v[0:1], s[0:1], s8, v3, v[0:1]
	v_add_u32_e32 v1, s9, v1
	s_waitcnt vmcnt(0)
	v_mul_f16_sdwa v8, v7, v6 dst_sel:DWORD dst_unused:UNUSED_PAD src0_sel:DWORD src1_sel:WORD_1
	v_mul_f16_sdwa v9, v4, v6 dst_sel:DWORD dst_unused:UNUSED_PAD src0_sel:DWORD src1_sel:WORD_1
	v_fma_f16 v4, v4, v6, v8
	v_fma_f16 v6, v6, v7, -v9
	v_cvt_f32_f16_e32 v4, v4
	v_cvt_f32_f16_e32 v8, v6
	v_cvt_f64_f32_e32 v[6:7], v4
	v_cvt_f64_f32_e32 v[8:9], v8
	v_mul_f64 v[6:7], v[6:7], s[6:7]
	v_mul_f64 v[8:9], v[8:9], s[6:7]
	v_and_or_b32 v4, v7, s16, v6
	v_and_or_b32 v8, v9, s16, v8
	v_cmp_ne_u32_e32 vcc, 0, v4
	v_lshrrev_b32_e32 v6, 8, v7
	v_bfe_u32 v10, v7, 20, 11
	v_cndmask_b32_e64 v4, 0, 1, vcc
	v_cmp_ne_u32_e32 vcc, 0, v8
	v_lshrrev_b32_e32 v11, 8, v9
	v_bfe_u32 v12, v9, 20, 11
	v_sub_u32_e32 v13, 0x3f1, v10
	v_cndmask_b32_e64 v8, 0, 1, vcc
	v_and_or_b32 v4, v6, s15, v4
	v_sub_u32_e32 v14, 0x3f1, v12
	v_med3_i32 v6, v13, 0, 13
	v_and_or_b32 v8, v11, s15, v8
	v_or_b32_e32 v13, 0x1000, v4
	v_add_u32_e32 v10, 0xfffffc10, v10
	v_med3_i32 v11, v14, 0, 13
	v_cmp_ne_u32_e32 vcc, 0, v4
	v_or_b32_e32 v15, 0x1000, v8
	v_lshrrev_b32_e32 v19, v6, v13
	v_add_u32_e32 v12, 0xfffffc10, v12
	v_lshl_or_b32 v14, v10, 12, v4
	v_cndmask_b32_e64 v4, 0, 1, vcc
	v_cmp_ne_u32_e32 vcc, 0, v8
	v_lshrrev_b32_e32 v22, v11, v15
	v_lshlrev_b32_e32 v6, v6, v19
	v_lshl_or_b32 v18, v12, 12, v8
	v_cndmask_b32_e64 v8, 0, 1, vcc
	v_lshlrev_b32_e32 v11, v11, v22
	v_cmp_ne_u32_e32 vcc, v6, v13
	v_lshl_or_b32 v4, v4, 9, v2
	v_lshl_or_b32 v8, v8, 9, v2
	v_cndmask_b32_e64 v6, 0, 1, vcc
	v_cmp_ne_u32_e32 vcc, v11, v15
	v_or_b32_e32 v6, v19, v6
	v_and_b32_sdwa v7, v7, s14 dst_sel:DWORD dst_unused:UNUSED_PAD src0_sel:WORD_1 src1_sel:DWORD
	v_cndmask_b32_e64 v11, 0, 1, vcc
	v_cmp_gt_i32_e32 vcc, 1, v10
	v_or_b32_e32 v11, v22, v11
	v_lshrrev_b32_e32 v9, 16, v9
	v_cndmask_b32_e32 v6, v14, v6, vcc
	v_cmp_gt_i32_e32 vcc, 1, v12
	v_and_b32_e32 v13, 7, v6
	v_cmp_eq_u32_e64 s[0:1], 3, v13
	v_cndmask_b32_e32 v11, v18, v11, vcc
	v_cmp_lt_i32_e32 vcc, 5, v13
	v_lshrrev_b32_e32 v6, 2, v6
	v_and_b32_e32 v14, 7, v11
	s_or_b64 vcc, s[0:1], vcc
	v_cmp_lt_i32_e64 s[2:3], 5, v14
	v_cmp_eq_u32_e64 s[4:5], 3, v14
	v_addc_co_u32_e32 v6, vcc, 0, v6, vcc
	v_lshrrev_b32_e32 v11, 2, v11
	s_or_b64 vcc, s[4:5], s[2:3]
	v_addc_co_u32_e32 v11, vcc, 0, v11, vcc
	v_cmp_gt_i32_e32 vcc, 31, v10
	s_nop 1
	v_cndmask_b32_e32 v6, v2, v6, vcc
	v_cmp_gt_i32_e32 vcc, 31, v12
	s_nop 1
	v_cndmask_b32_e32 v11, v2, v11, vcc
	v_cmp_eq_u32_e32 vcc, s10, v10
	s_nop 1
	v_cndmask_b32_e32 v4, v6, v4, vcc
	v_cmp_eq_u32_e32 vcc, s10, v12
	v_bitop3_b32 v4, v7, s17, v4 bitop3:0xc8
	s_nop 0
	v_cndmask_b32_e32 v6, v11, v8, vcc
	v_and_or_b32 v6, v9, s14, v6
	v_lshl_or_b32 v4, v6, 16, v4
	global_store_dword v[0:1], v4, off
	global_load_dword v4, v16, s[12:13] offset:800
	v_lshrrev_b32_e32 v6, 16, v5
	v_mad_u64_u32 v[0:1], s[0:1], s8, v3, v[0:1]
	v_add_u32_e32 v1, s9, v1
	s_waitcnt vmcnt(0)
	v_mul_f16_sdwa v7, v6, v4 dst_sel:DWORD dst_unused:UNUSED_PAD src0_sel:DWORD src1_sel:WORD_1
	v_mul_f16_sdwa v8, v5, v4 dst_sel:DWORD dst_unused:UNUSED_PAD src0_sel:DWORD src1_sel:WORD_1
	v_fma_f16 v5, v5, v4, v7
	v_fma_f16 v4, v4, v6, -v8
	v_cvt_f32_f16_e32 v5, v5
	v_cvt_f32_f16_e32 v6, v4
	v_cvt_f64_f32_e32 v[4:5], v5
	v_cvt_f64_f32_e32 v[6:7], v6
	v_mul_f64 v[4:5], v[4:5], s[6:7]
	v_mul_f64 v[6:7], v[6:7], s[6:7]
	v_and_or_b32 v4, v5, s16, v4
	v_and_or_b32 v6, v7, s16, v6
	v_cmp_ne_u32_e32 vcc, 0, v4
	v_lshrrev_b32_e32 v8, 8, v5
	v_bfe_u32 v9, v5, 20, 11
	v_cndmask_b32_e64 v4, 0, 1, vcc
	v_cmp_ne_u32_e32 vcc, 0, v6
	v_lshrrev_b32_e32 v10, 8, v7
	v_bfe_u32 v11, v7, 20, 11
	v_sub_u32_e32 v12, 0x3f1, v9
	v_cndmask_b32_e64 v6, 0, 1, vcc
	v_and_or_b32 v4, v8, s15, v4
	v_sub_u32_e32 v13, 0x3f1, v11
	v_med3_i32 v8, v12, 0, 13
	v_and_or_b32 v6, v10, s15, v6
	v_or_b32_e32 v12, 0x1000, v4
	v_add_u32_e32 v9, 0xfffffc10, v9
	v_med3_i32 v10, v13, 0, 13
	v_cmp_ne_u32_e32 vcc, 0, v4
	v_or_b32_e32 v14, 0x1000, v6
	v_lshrrev_b32_e32 v18, v8, v12
	v_add_u32_e32 v11, 0xfffffc10, v11
	v_lshl_or_b32 v13, v9, 12, v4
	v_cndmask_b32_e64 v4, 0, 1, vcc
	v_cmp_ne_u32_e32 vcc, 0, v6
	v_lshrrev_b32_e32 v19, v10, v14
	v_lshlrev_b32_e32 v8, v8, v18
	v_lshl_or_b32 v15, v11, 12, v6
	v_cndmask_b32_e64 v6, 0, 1, vcc
	v_lshlrev_b32_e32 v10, v10, v19
	v_cmp_ne_u32_e32 vcc, v8, v12
	v_lshl_or_b32 v4, v4, 9, v2
	v_lshl_or_b32 v6, v6, 9, v2
	v_cndmask_b32_e64 v8, 0, 1, vcc
	v_cmp_ne_u32_e32 vcc, v10, v14
	v_or_b32_e32 v8, v18, v8
	v_and_b32_sdwa v5, v5, s14 dst_sel:DWORD dst_unused:UNUSED_PAD src0_sel:WORD_1 src1_sel:DWORD
	v_cndmask_b32_e64 v10, 0, 1, vcc
	v_cmp_gt_i32_e32 vcc, 1, v9
	v_or_b32_e32 v10, v19, v10
	v_lshrrev_b32_e32 v7, 16, v7
	v_cndmask_b32_e32 v8, v13, v8, vcc
	v_cmp_gt_i32_e32 vcc, 1, v11
	v_and_b32_e32 v12, 7, v8
	v_cmp_eq_u32_e64 s[0:1], 3, v12
	v_cndmask_b32_e32 v10, v15, v10, vcc
	v_cmp_lt_i32_e32 vcc, 5, v12
	v_lshrrev_b32_e32 v8, 2, v8
	v_and_b32_e32 v13, 7, v10
	s_or_b64 vcc, s[0:1], vcc
	v_cmp_lt_i32_e64 s[2:3], 5, v13
	v_cmp_eq_u32_e64 s[4:5], 3, v13
	v_addc_co_u32_e32 v8, vcc, 0, v8, vcc
	v_lshrrev_b32_e32 v10, 2, v10
	s_or_b64 vcc, s[4:5], s[2:3]
	v_addc_co_u32_e32 v10, vcc, 0, v10, vcc
	v_cmp_gt_i32_e32 vcc, 31, v9
	s_nop 1
	v_cndmask_b32_e32 v8, v2, v8, vcc
	v_cmp_gt_i32_e32 vcc, 31, v11
	s_nop 1
	v_cndmask_b32_e32 v10, v2, v10, vcc
	v_cmp_eq_u32_e32 vcc, s10, v9
	s_nop 1
	v_cndmask_b32_e32 v4, v8, v4, vcc
	v_cmp_eq_u32_e32 vcc, s10, v11
	v_bitop3_b32 v4, v5, s17, v4 bitop3:0xc8
	s_nop 0
	v_cndmask_b32_e32 v6, v10, v6, vcc
	v_and_or_b32 v6, v7, s14, v6
	v_lshl_or_b32 v4, v6, 16, v4
	global_store_dword v[0:1], v4, off
	global_load_dword v6, v16, s[12:13] offset:1200
	ds_read2_b32 v[4:5], v21 offset0:44 offset1:144
	v_mad_u64_u32 v[0:1], s[0:1], s8, v3, v[0:1]
	v_add_u32_e32 v1, s9, v1
	s_waitcnt lgkmcnt(0)
	v_lshrrev_b32_e32 v7, 16, v4
	s_waitcnt vmcnt(0)
	v_mul_f16_sdwa v8, v7, v6 dst_sel:DWORD dst_unused:UNUSED_PAD src0_sel:DWORD src1_sel:WORD_1
	v_mul_f16_sdwa v9, v4, v6 dst_sel:DWORD dst_unused:UNUSED_PAD src0_sel:DWORD src1_sel:WORD_1
	v_fma_f16 v4, v4, v6, v8
	v_fma_f16 v6, v6, v7, -v9
	v_cvt_f32_f16_e32 v4, v4
	v_cvt_f32_f16_e32 v8, v6
	v_cvt_f64_f32_e32 v[6:7], v4
	v_cvt_f64_f32_e32 v[8:9], v8
	v_mul_f64 v[6:7], v[6:7], s[6:7]
	v_mul_f64 v[8:9], v[8:9], s[6:7]
	v_and_or_b32 v4, v7, s16, v6
	v_and_or_b32 v8, v9, s16, v8
	v_cmp_ne_u32_e32 vcc, 0, v4
	v_lshrrev_b32_e32 v6, 8, v7
	v_bfe_u32 v10, v7, 20, 11
	v_cndmask_b32_e64 v4, 0, 1, vcc
	v_cmp_ne_u32_e32 vcc, 0, v8
	v_lshrrev_b32_e32 v11, 8, v9
	v_bfe_u32 v12, v9, 20, 11
	v_sub_u32_e32 v13, 0x3f1, v10
	v_cndmask_b32_e64 v8, 0, 1, vcc
	v_and_or_b32 v4, v6, s15, v4
	v_sub_u32_e32 v14, 0x3f1, v12
	v_med3_i32 v6, v13, 0, 13
	v_and_or_b32 v8, v11, s15, v8
	v_or_b32_e32 v13, 0x1000, v4
	v_add_u32_e32 v10, 0xfffffc10, v10
	v_med3_i32 v11, v14, 0, 13
	v_cmp_ne_u32_e32 vcc, 0, v4
	v_or_b32_e32 v15, 0x1000, v8
	v_lshrrev_b32_e32 v19, v6, v13
	v_add_u32_e32 v12, 0xfffffc10, v12
	v_lshl_or_b32 v14, v10, 12, v4
	v_cndmask_b32_e64 v4, 0, 1, vcc
	v_cmp_ne_u32_e32 vcc, 0, v8
	v_lshrrev_b32_e32 v21, v11, v15
	v_lshlrev_b32_e32 v6, v6, v19
	v_lshl_or_b32 v18, v12, 12, v8
	v_cndmask_b32_e64 v8, 0, 1, vcc
	v_lshlrev_b32_e32 v11, v11, v21
	v_cmp_ne_u32_e32 vcc, v6, v13
	v_lshl_or_b32 v4, v4, 9, v2
	v_lshl_or_b32 v8, v8, 9, v2
	v_cndmask_b32_e64 v6, 0, 1, vcc
	v_cmp_ne_u32_e32 vcc, v11, v15
	v_or_b32_e32 v6, v19, v6
	v_and_b32_sdwa v7, v7, s14 dst_sel:DWORD dst_unused:UNUSED_PAD src0_sel:WORD_1 src1_sel:DWORD
	v_cndmask_b32_e64 v11, 0, 1, vcc
	v_cmp_gt_i32_e32 vcc, 1, v10
	v_or_b32_e32 v11, v21, v11
	v_lshrrev_b32_e32 v9, 16, v9
	v_cndmask_b32_e32 v6, v14, v6, vcc
	v_cmp_gt_i32_e32 vcc, 1, v12
	v_and_b32_e32 v13, 7, v6
	v_cmp_eq_u32_e64 s[0:1], 3, v13
	v_cndmask_b32_e32 v11, v18, v11, vcc
	v_cmp_lt_i32_e32 vcc, 5, v13
	v_lshrrev_b32_e32 v6, 2, v6
	v_and_b32_e32 v14, 7, v11
	s_or_b64 vcc, s[0:1], vcc
	v_cmp_lt_i32_e64 s[2:3], 5, v14
	v_cmp_eq_u32_e64 s[4:5], 3, v14
	v_addc_co_u32_e32 v6, vcc, 0, v6, vcc
	v_lshrrev_b32_e32 v11, 2, v11
	s_or_b64 vcc, s[4:5], s[2:3]
	v_addc_co_u32_e32 v11, vcc, 0, v11, vcc
	v_cmp_gt_i32_e32 vcc, 31, v10
	s_nop 1
	v_cndmask_b32_e32 v6, v2, v6, vcc
	v_cmp_gt_i32_e32 vcc, 31, v12
	s_nop 1
	v_cndmask_b32_e32 v11, v2, v11, vcc
	v_cmp_eq_u32_e32 vcc, s10, v10
	s_nop 1
	v_cndmask_b32_e32 v4, v6, v4, vcc
	v_cmp_eq_u32_e32 vcc, s10, v12
	v_bitop3_b32 v4, v7, s17, v4 bitop3:0xc8
	s_nop 0
	v_cndmask_b32_e32 v6, v11, v8, vcc
	v_and_or_b32 v6, v9, s14, v6
	v_lshl_or_b32 v4, v6, 16, v4
	global_store_dword v[0:1], v4, off
	global_load_dword v4, v16, s[12:13] offset:1600
	v_lshrrev_b32_e32 v6, 16, v5
	v_mad_u64_u32 v[0:1], s[0:1], s8, v3, v[0:1]
	v_add_u32_e32 v1, s9, v1
	s_waitcnt vmcnt(0)
	v_mul_f16_sdwa v7, v6, v4 dst_sel:DWORD dst_unused:UNUSED_PAD src0_sel:DWORD src1_sel:WORD_1
	v_mul_f16_sdwa v8, v5, v4 dst_sel:DWORD dst_unused:UNUSED_PAD src0_sel:DWORD src1_sel:WORD_1
	v_fma_f16 v5, v5, v4, v7
	v_fma_f16 v4, v4, v6, -v8
	v_cvt_f32_f16_e32 v5, v5
	v_cvt_f32_f16_e32 v6, v4
	v_cvt_f64_f32_e32 v[4:5], v5
	v_cvt_f64_f32_e32 v[6:7], v6
	v_mul_f64 v[4:5], v[4:5], s[6:7]
	v_mul_f64 v[6:7], v[6:7], s[6:7]
	v_and_or_b32 v4, v5, s16, v4
	v_and_or_b32 v6, v7, s16, v6
	v_cmp_ne_u32_e32 vcc, 0, v4
	v_lshrrev_b32_e32 v8, 8, v5
	v_bfe_u32 v9, v5, 20, 11
	v_cndmask_b32_e64 v4, 0, 1, vcc
	v_cmp_ne_u32_e32 vcc, 0, v6
	v_lshrrev_b32_e32 v10, 8, v7
	v_bfe_u32 v11, v7, 20, 11
	v_sub_u32_e32 v12, 0x3f1, v9
	v_cndmask_b32_e64 v6, 0, 1, vcc
	v_and_or_b32 v4, v8, s15, v4
	v_sub_u32_e32 v13, 0x3f1, v11
	v_med3_i32 v8, v12, 0, 13
	v_and_or_b32 v6, v10, s15, v6
	v_or_b32_e32 v12, 0x1000, v4
	v_add_u32_e32 v9, 0xfffffc10, v9
	v_med3_i32 v10, v13, 0, 13
	v_cmp_ne_u32_e32 vcc, 0, v4
	v_or_b32_e32 v14, 0x1000, v6
	v_lshrrev_b32_e32 v18, v8, v12
	v_add_u32_e32 v11, 0xfffffc10, v11
	v_lshl_or_b32 v13, v9, 12, v4
	v_cndmask_b32_e64 v4, 0, 1, vcc
	v_cmp_ne_u32_e32 vcc, 0, v6
	v_lshrrev_b32_e32 v19, v10, v14
	v_lshlrev_b32_e32 v8, v8, v18
	v_lshl_or_b32 v15, v11, 12, v6
	v_cndmask_b32_e64 v6, 0, 1, vcc
	v_lshlrev_b32_e32 v10, v10, v19
	v_cmp_ne_u32_e32 vcc, v8, v12
	v_lshl_or_b32 v4, v4, 9, v2
	v_lshl_or_b32 v6, v6, 9, v2
	v_cndmask_b32_e64 v8, 0, 1, vcc
	v_cmp_ne_u32_e32 vcc, v10, v14
	v_or_b32_e32 v8, v18, v8
	v_and_b32_sdwa v5, v5, s14 dst_sel:DWORD dst_unused:UNUSED_PAD src0_sel:WORD_1 src1_sel:DWORD
	v_cndmask_b32_e64 v10, 0, 1, vcc
	v_cmp_gt_i32_e32 vcc, 1, v9
	v_or_b32_e32 v10, v19, v10
	v_lshrrev_b32_e32 v7, 16, v7
	v_cndmask_b32_e32 v8, v13, v8, vcc
	v_cmp_gt_i32_e32 vcc, 1, v11
	v_and_b32_e32 v12, 7, v8
	v_cmp_eq_u32_e64 s[0:1], 3, v12
	v_cndmask_b32_e32 v10, v15, v10, vcc
	v_cmp_lt_i32_e32 vcc, 5, v12
	v_lshrrev_b32_e32 v8, 2, v8
	v_and_b32_e32 v13, 7, v10
	s_or_b64 vcc, s[0:1], vcc
	v_cmp_lt_i32_e64 s[2:3], 5, v13
	v_cmp_eq_u32_e64 s[4:5], 3, v13
	v_addc_co_u32_e32 v8, vcc, 0, v8, vcc
	v_lshrrev_b32_e32 v10, 2, v10
	s_or_b64 vcc, s[4:5], s[2:3]
	v_addc_co_u32_e32 v10, vcc, 0, v10, vcc
	v_cmp_gt_i32_e32 vcc, 31, v9
	s_nop 1
	v_cndmask_b32_e32 v8, v2, v8, vcc
	v_cmp_gt_i32_e32 vcc, 31, v11
	s_nop 1
	v_cndmask_b32_e32 v10, v2, v10, vcc
	v_cmp_eq_u32_e32 vcc, s10, v9
	s_nop 1
	v_cndmask_b32_e32 v4, v8, v4, vcc
	v_cmp_eq_u32_e32 vcc, s10, v11
	v_bitop3_b32 v4, v5, s17, v4 bitop3:0xc8
	s_nop 0
	v_cndmask_b32_e32 v6, v10, v6, vcc
	v_and_or_b32 v6, v7, s14, v6
	v_lshl_or_b32 v4, v6, 16, v4
	global_store_dword v[0:1], v4, off
	global_load_dword v6, v16, s[12:13] offset:2000
	v_add_u32_e32 v4, 0x600, v16
	ds_read2_b32 v[4:5], v4 offset0:116 offset1:216
	v_mad_u64_u32 v[0:1], s[0:1], s8, v3, v[0:1]
	v_add_u32_e32 v1, s9, v1
	s_waitcnt lgkmcnt(0)
	v_lshrrev_b32_e32 v7, 16, v4
	s_waitcnt vmcnt(0)
	v_mul_f16_sdwa v8, v7, v6 dst_sel:DWORD dst_unused:UNUSED_PAD src0_sel:DWORD src1_sel:WORD_1
	v_mul_f16_sdwa v9, v4, v6 dst_sel:DWORD dst_unused:UNUSED_PAD src0_sel:DWORD src1_sel:WORD_1
	v_fma_f16 v4, v4, v6, v8
	v_fma_f16 v6, v6, v7, -v9
	v_cvt_f32_f16_e32 v4, v4
	v_cvt_f32_f16_e32 v8, v6
	v_cvt_f64_f32_e32 v[6:7], v4
	v_cvt_f64_f32_e32 v[8:9], v8
	v_mul_f64 v[6:7], v[6:7], s[6:7]
	v_mul_f64 v[8:9], v[8:9], s[6:7]
	v_and_or_b32 v4, v7, s16, v6
	v_and_or_b32 v8, v9, s16, v8
	v_cmp_ne_u32_e32 vcc, 0, v4
	v_lshrrev_b32_e32 v6, 8, v7
	v_bfe_u32 v10, v7, 20, 11
	v_cndmask_b32_e64 v4, 0, 1, vcc
	v_cmp_ne_u32_e32 vcc, 0, v8
	v_lshrrev_b32_e32 v11, 8, v9
	v_bfe_u32 v12, v9, 20, 11
	v_sub_u32_e32 v13, 0x3f1, v10
	v_cndmask_b32_e64 v8, 0, 1, vcc
	v_and_or_b32 v4, v6, s15, v4
	v_sub_u32_e32 v14, 0x3f1, v12
	v_med3_i32 v6, v13, 0, 13
	v_and_or_b32 v8, v11, s15, v8
	v_or_b32_e32 v13, 0x1000, v4
	v_add_u32_e32 v10, 0xfffffc10, v10
	v_med3_i32 v11, v14, 0, 13
	v_cmp_ne_u32_e32 vcc, 0, v4
	v_or_b32_e32 v15, 0x1000, v8
	v_lshrrev_b32_e32 v19, v6, v13
	v_add_u32_e32 v12, 0xfffffc10, v12
	v_lshl_or_b32 v14, v10, 12, v4
	v_cndmask_b32_e64 v4, 0, 1, vcc
	v_cmp_ne_u32_e32 vcc, 0, v8
	v_lshrrev_b32_e32 v21, v11, v15
	v_lshlrev_b32_e32 v6, v6, v19
	v_lshl_or_b32 v18, v12, 12, v8
	v_cndmask_b32_e64 v8, 0, 1, vcc
	v_lshlrev_b32_e32 v11, v11, v21
	v_cmp_ne_u32_e32 vcc, v6, v13
	v_lshl_or_b32 v4, v4, 9, v2
	v_lshl_or_b32 v8, v8, 9, v2
	v_cndmask_b32_e64 v6, 0, 1, vcc
	v_cmp_ne_u32_e32 vcc, v11, v15
	v_or_b32_e32 v6, v19, v6
	v_and_b32_sdwa v7, v7, s14 dst_sel:DWORD dst_unused:UNUSED_PAD src0_sel:WORD_1 src1_sel:DWORD
	v_cndmask_b32_e64 v11, 0, 1, vcc
	v_cmp_gt_i32_e32 vcc, 1, v10
	v_or_b32_e32 v11, v21, v11
	v_lshrrev_b32_e32 v9, 16, v9
	v_cndmask_b32_e32 v6, v14, v6, vcc
	v_cmp_gt_i32_e32 vcc, 1, v12
	v_and_b32_e32 v13, 7, v6
	v_cmp_eq_u32_e64 s[0:1], 3, v13
	v_cndmask_b32_e32 v11, v18, v11, vcc
	v_cmp_lt_i32_e32 vcc, 5, v13
	v_lshrrev_b32_e32 v6, 2, v6
	v_and_b32_e32 v14, 7, v11
	s_or_b64 vcc, s[0:1], vcc
	v_cmp_lt_i32_e64 s[2:3], 5, v14
	v_cmp_eq_u32_e64 s[4:5], 3, v14
	v_addc_co_u32_e32 v6, vcc, 0, v6, vcc
	v_lshrrev_b32_e32 v11, 2, v11
	s_or_b64 vcc, s[4:5], s[2:3]
	v_addc_co_u32_e32 v11, vcc, 0, v11, vcc
	v_cmp_gt_i32_e32 vcc, 31, v10
	s_nop 1
	v_cndmask_b32_e32 v6, v2, v6, vcc
	v_cmp_gt_i32_e32 vcc, 31, v12
	s_nop 1
	v_cndmask_b32_e32 v11, v2, v11, vcc
	v_cmp_eq_u32_e32 vcc, s10, v10
	s_nop 1
	v_cndmask_b32_e32 v4, v6, v4, vcc
	v_cmp_eq_u32_e32 vcc, s10, v12
	v_bitop3_b32 v4, v7, s17, v4 bitop3:0xc8
	s_nop 0
	v_cndmask_b32_e32 v6, v11, v8, vcc
	v_and_or_b32 v6, v9, s14, v6
	v_lshl_or_b32 v4, v6, 16, v4
	global_store_dword v[0:1], v4, off
	global_load_dword v4, v16, s[12:13] offset:2400
	v_lshrrev_b32_e32 v6, 16, v5
	v_mad_u64_u32 v[0:1], s[0:1], s8, v3, v[0:1]
	v_add_u32_e32 v1, s9, v1
	s_waitcnt vmcnt(0)
	v_mul_f16_sdwa v7, v6, v4 dst_sel:DWORD dst_unused:UNUSED_PAD src0_sel:DWORD src1_sel:WORD_1
	v_mul_f16_sdwa v8, v5, v4 dst_sel:DWORD dst_unused:UNUSED_PAD src0_sel:DWORD src1_sel:WORD_1
	v_fma_f16 v5, v5, v4, v7
	v_fma_f16 v4, v4, v6, -v8
	v_cvt_f32_f16_e32 v5, v5
	v_cvt_f32_f16_e32 v6, v4
	v_cvt_f64_f32_e32 v[4:5], v5
	v_cvt_f64_f32_e32 v[6:7], v6
	v_mul_f64 v[4:5], v[4:5], s[6:7]
	v_mul_f64 v[6:7], v[6:7], s[6:7]
	v_and_or_b32 v4, v5, s16, v4
	v_and_or_b32 v6, v7, s16, v6
	v_cmp_ne_u32_e32 vcc, 0, v4
	v_lshrrev_b32_e32 v8, 8, v5
	v_bfe_u32 v9, v5, 20, 11
	v_cndmask_b32_e64 v4, 0, 1, vcc
	v_cmp_ne_u32_e32 vcc, 0, v6
	v_lshrrev_b32_e32 v10, 8, v7
	v_bfe_u32 v11, v7, 20, 11
	v_sub_u32_e32 v12, 0x3f1, v9
	v_cndmask_b32_e64 v6, 0, 1, vcc
	v_and_or_b32 v4, v8, s15, v4
	v_sub_u32_e32 v13, 0x3f1, v11
	v_med3_i32 v8, v12, 0, 13
	v_and_or_b32 v6, v10, s15, v6
	v_or_b32_e32 v12, 0x1000, v4
	v_add_u32_e32 v9, 0xfffffc10, v9
	v_med3_i32 v10, v13, 0, 13
	v_cmp_ne_u32_e32 vcc, 0, v4
	v_or_b32_e32 v14, 0x1000, v6
	v_lshrrev_b32_e32 v18, v8, v12
	v_add_u32_e32 v11, 0xfffffc10, v11
	v_lshl_or_b32 v13, v9, 12, v4
	v_cndmask_b32_e64 v4, 0, 1, vcc
	v_cmp_ne_u32_e32 vcc, 0, v6
	v_lshrrev_b32_e32 v19, v10, v14
	v_lshlrev_b32_e32 v8, v8, v18
	v_lshl_or_b32 v15, v11, 12, v6
	v_cndmask_b32_e64 v6, 0, 1, vcc
	v_lshlrev_b32_e32 v10, v10, v19
	v_cmp_ne_u32_e32 vcc, v8, v12
	v_lshl_or_b32 v4, v4, 9, v2
	v_lshl_or_b32 v6, v6, 9, v2
	v_cndmask_b32_e64 v8, 0, 1, vcc
	v_cmp_ne_u32_e32 vcc, v10, v14
	v_or_b32_e32 v8, v18, v8
	v_and_b32_sdwa v5, v5, s14 dst_sel:DWORD dst_unused:UNUSED_PAD src0_sel:WORD_1 src1_sel:DWORD
	v_cndmask_b32_e64 v10, 0, 1, vcc
	v_cmp_gt_i32_e32 vcc, 1, v9
	v_or_b32_e32 v10, v19, v10
	v_lshrrev_b32_e32 v7, 16, v7
	v_cndmask_b32_e32 v8, v13, v8, vcc
	v_cmp_gt_i32_e32 vcc, 1, v11
	v_and_b32_e32 v12, 7, v8
	v_cmp_eq_u32_e64 s[0:1], 3, v12
	v_cndmask_b32_e32 v10, v15, v10, vcc
	v_cmp_lt_i32_e32 vcc, 5, v12
	v_lshrrev_b32_e32 v8, 2, v8
	v_and_b32_e32 v13, 7, v10
	s_or_b64 vcc, s[0:1], vcc
	v_cmp_lt_i32_e64 s[2:3], 5, v13
	v_cmp_eq_u32_e64 s[4:5], 3, v13
	v_addc_co_u32_e32 v8, vcc, 0, v8, vcc
	v_lshrrev_b32_e32 v10, 2, v10
	s_or_b64 vcc, s[4:5], s[2:3]
	v_addc_co_u32_e32 v10, vcc, 0, v10, vcc
	v_cmp_gt_i32_e32 vcc, 31, v9
	s_nop 1
	v_cndmask_b32_e32 v8, v2, v8, vcc
	v_cmp_gt_i32_e32 vcc, 31, v11
	s_nop 1
	v_cndmask_b32_e32 v10, v2, v10, vcc
	v_cmp_eq_u32_e32 vcc, s10, v9
	s_nop 1
	v_cndmask_b32_e32 v4, v8, v4, vcc
	v_cmp_eq_u32_e32 vcc, s10, v11
	v_bitop3_b32 v4, v5, s17, v4 bitop3:0xc8
	s_nop 0
	v_cndmask_b32_e32 v6, v10, v6, vcc
	v_and_or_b32 v6, v7, s14, v6
	v_lshl_or_b32 v4, v6, 16, v4
	global_store_dword v[0:1], v4, off
	global_load_dword v6, v16, s[12:13] offset:2800
	ds_read2_b32 v[4:5], v17 offset0:60 offset1:160
	v_mad_u64_u32 v[0:1], s[0:1], s8, v3, v[0:1]
	v_add_u32_e32 v1, s9, v1
	s_waitcnt lgkmcnt(0)
	v_lshrrev_b32_e32 v7, 16, v4
	s_waitcnt vmcnt(0)
	v_mul_f16_sdwa v8, v7, v6 dst_sel:DWORD dst_unused:UNUSED_PAD src0_sel:DWORD src1_sel:WORD_1
	v_mul_f16_sdwa v9, v4, v6 dst_sel:DWORD dst_unused:UNUSED_PAD src0_sel:DWORD src1_sel:WORD_1
	v_fma_f16 v4, v4, v6, v8
	v_fma_f16 v6, v6, v7, -v9
	v_cvt_f32_f16_e32 v4, v4
	v_cvt_f32_f16_e32 v8, v6
	v_cvt_f64_f32_e32 v[6:7], v4
	v_cvt_f64_f32_e32 v[8:9], v8
	v_mul_f64 v[6:7], v[6:7], s[6:7]
	v_mul_f64 v[8:9], v[8:9], s[6:7]
	v_and_or_b32 v4, v7, s16, v6
	v_and_or_b32 v8, v9, s16, v8
	v_cmp_ne_u32_e32 vcc, 0, v4
	v_lshrrev_b32_e32 v6, 8, v7
	v_bfe_u32 v10, v7, 20, 11
	v_cndmask_b32_e64 v4, 0, 1, vcc
	v_cmp_ne_u32_e32 vcc, 0, v8
	v_lshrrev_b32_e32 v11, 8, v9
	v_bfe_u32 v12, v9, 20, 11
	v_sub_u32_e32 v13, 0x3f1, v10
	v_cndmask_b32_e64 v8, 0, 1, vcc
	v_and_or_b32 v4, v6, s15, v4
	v_sub_u32_e32 v14, 0x3f1, v12
	v_med3_i32 v6, v13, 0, 13
	v_and_or_b32 v8, v11, s15, v8
	v_or_b32_e32 v13, 0x1000, v4
	v_add_u32_e32 v10, 0xfffffc10, v10
	v_med3_i32 v11, v14, 0, 13
	v_cmp_ne_u32_e32 vcc, 0, v4
	v_or_b32_e32 v15, 0x1000, v8
	v_lshrrev_b32_e32 v18, v6, v13
	v_add_u32_e32 v12, 0xfffffc10, v12
	v_lshl_or_b32 v14, v10, 12, v4
	v_cndmask_b32_e64 v4, 0, 1, vcc
	v_cmp_ne_u32_e32 vcc, 0, v8
	v_lshrrev_b32_e32 v19, v11, v15
	v_lshlrev_b32_e32 v6, v6, v18
	v_lshl_or_b32 v17, v12, 12, v8
	v_cndmask_b32_e64 v8, 0, 1, vcc
	v_lshlrev_b32_e32 v11, v11, v19
	v_cmp_ne_u32_e32 vcc, v6, v13
	v_lshl_or_b32 v4, v4, 9, v2
	v_lshl_or_b32 v8, v8, 9, v2
	v_cndmask_b32_e64 v6, 0, 1, vcc
	v_cmp_ne_u32_e32 vcc, v11, v15
	v_or_b32_e32 v6, v18, v6
	v_and_b32_sdwa v7, v7, s14 dst_sel:DWORD dst_unused:UNUSED_PAD src0_sel:WORD_1 src1_sel:DWORD
	v_cndmask_b32_e64 v11, 0, 1, vcc
	v_cmp_gt_i32_e32 vcc, 1, v10
	v_or_b32_e32 v11, v19, v11
	v_lshrrev_b32_e32 v9, 16, v9
	v_cndmask_b32_e32 v6, v14, v6, vcc
	v_cmp_gt_i32_e32 vcc, 1, v12
	v_and_b32_e32 v13, 7, v6
	v_cmp_eq_u32_e64 s[0:1], 3, v13
	v_cndmask_b32_e32 v11, v17, v11, vcc
	v_cmp_lt_i32_e32 vcc, 5, v13
	v_lshrrev_b32_e32 v6, 2, v6
	v_and_b32_e32 v14, 7, v11
	s_or_b64 vcc, s[0:1], vcc
	v_cmp_lt_i32_e64 s[2:3], 5, v14
	v_cmp_eq_u32_e64 s[4:5], 3, v14
	v_addc_co_u32_e32 v6, vcc, 0, v6, vcc
	v_lshrrev_b32_e32 v11, 2, v11
	s_or_b64 vcc, s[4:5], s[2:3]
	v_addc_co_u32_e32 v11, vcc, 0, v11, vcc
	v_cmp_gt_i32_e32 vcc, 31, v10
	s_nop 1
	v_cndmask_b32_e32 v6, v2, v6, vcc
	v_cmp_gt_i32_e32 vcc, 31, v12
	s_nop 1
	v_cndmask_b32_e32 v11, v2, v11, vcc
	v_cmp_eq_u32_e32 vcc, s10, v10
	s_nop 1
	v_cndmask_b32_e32 v4, v6, v4, vcc
	v_cmp_eq_u32_e32 vcc, s10, v12
	v_bitop3_b32 v4, v7, s17, v4 bitop3:0xc8
	s_nop 0
	v_cndmask_b32_e32 v6, v11, v8, vcc
	v_and_or_b32 v6, v9, s14, v6
	v_lshl_or_b32 v4, v6, 16, v4
	global_store_dword v[0:1], v4, off
	global_load_dword v4, v16, s[12:13] offset:3200
	v_lshrrev_b32_e32 v6, 16, v5
	v_mad_u64_u32 v[0:1], s[0:1], s8, v3, v[0:1]
	v_add_u32_e32 v1, s9, v1
	s_waitcnt vmcnt(0)
	v_mul_f16_sdwa v7, v6, v4 dst_sel:DWORD dst_unused:UNUSED_PAD src0_sel:DWORD src1_sel:WORD_1
	v_mul_f16_sdwa v8, v5, v4 dst_sel:DWORD dst_unused:UNUSED_PAD src0_sel:DWORD src1_sel:WORD_1
	v_fma_f16 v5, v5, v4, v7
	v_fma_f16 v4, v4, v6, -v8
	v_cvt_f32_f16_e32 v5, v5
	v_cvt_f32_f16_e32 v6, v4
	v_cvt_f64_f32_e32 v[4:5], v5
	v_cvt_f64_f32_e32 v[6:7], v6
	v_mul_f64 v[4:5], v[4:5], s[6:7]
	v_mul_f64 v[6:7], v[6:7], s[6:7]
	v_and_or_b32 v4, v5, s16, v4
	v_and_or_b32 v6, v7, s16, v6
	v_cmp_ne_u32_e32 vcc, 0, v4
	v_lshrrev_b32_e32 v8, 8, v5
	v_bfe_u32 v9, v5, 20, 11
	v_cndmask_b32_e64 v4, 0, 1, vcc
	v_cmp_ne_u32_e32 vcc, 0, v6
	v_lshrrev_b32_e32 v10, 8, v7
	v_bfe_u32 v11, v7, 20, 11
	v_sub_u32_e32 v12, 0x3f1, v9
	v_cndmask_b32_e64 v6, 0, 1, vcc
	v_and_or_b32 v4, v8, s15, v4
	v_sub_u32_e32 v13, 0x3f1, v11
	v_med3_i32 v8, v12, 0, 13
	v_and_or_b32 v6, v10, s15, v6
	v_or_b32_e32 v12, 0x1000, v4
	v_add_u32_e32 v9, 0xfffffc10, v9
	v_med3_i32 v10, v13, 0, 13
	v_cmp_ne_u32_e32 vcc, 0, v4
	v_or_b32_e32 v14, 0x1000, v6
	v_lshrrev_b32_e32 v17, v8, v12
	v_add_u32_e32 v11, 0xfffffc10, v11
	v_lshl_or_b32 v13, v9, 12, v4
	v_cndmask_b32_e64 v4, 0, 1, vcc
	v_cmp_ne_u32_e32 vcc, 0, v6
	v_lshrrev_b32_e32 v18, v10, v14
	v_lshlrev_b32_e32 v8, v8, v17
	v_lshl_or_b32 v15, v11, 12, v6
	v_cndmask_b32_e64 v6, 0, 1, vcc
	v_lshlrev_b32_e32 v10, v10, v18
	v_cmp_ne_u32_e32 vcc, v8, v12
	v_lshl_or_b32 v4, v4, 9, v2
	v_lshl_or_b32 v6, v6, 9, v2
	v_cndmask_b32_e64 v8, 0, 1, vcc
	v_cmp_ne_u32_e32 vcc, v10, v14
	v_or_b32_e32 v8, v17, v8
	v_and_b32_sdwa v5, v5, s14 dst_sel:DWORD dst_unused:UNUSED_PAD src0_sel:WORD_1 src1_sel:DWORD
	v_cndmask_b32_e64 v10, 0, 1, vcc
	v_cmp_gt_i32_e32 vcc, 1, v9
	v_or_b32_e32 v10, v18, v10
	v_lshrrev_b32_e32 v7, 16, v7
	v_cndmask_b32_e32 v8, v13, v8, vcc
	v_cmp_gt_i32_e32 vcc, 1, v11
	v_and_b32_e32 v12, 7, v8
	v_cmp_eq_u32_e64 s[0:1], 3, v12
	v_cndmask_b32_e32 v10, v15, v10, vcc
	v_cmp_lt_i32_e32 vcc, 5, v12
	v_lshrrev_b32_e32 v8, 2, v8
	v_and_b32_e32 v13, 7, v10
	s_or_b64 vcc, s[0:1], vcc
	v_cmp_lt_i32_e64 s[2:3], 5, v13
	v_cmp_eq_u32_e64 s[4:5], 3, v13
	v_addc_co_u32_e32 v8, vcc, 0, v8, vcc
	v_lshrrev_b32_e32 v10, 2, v10
	s_or_b64 vcc, s[4:5], s[2:3]
	v_addc_co_u32_e32 v10, vcc, 0, v10, vcc
	v_cmp_gt_i32_e32 vcc, 31, v9
	s_nop 1
	v_cndmask_b32_e32 v8, v2, v8, vcc
	v_cmp_gt_i32_e32 vcc, 31, v11
	s_nop 1
	v_cndmask_b32_e32 v10, v2, v10, vcc
	v_cmp_eq_u32_e32 vcc, s10, v9
	s_nop 1
	v_cndmask_b32_e32 v4, v8, v4, vcc
	v_cmp_eq_u32_e32 vcc, s10, v11
	v_bitop3_b32 v4, v5, s17, v4 bitop3:0xc8
	s_nop 0
	v_cndmask_b32_e32 v6, v10, v6, vcc
	v_and_or_b32 v6, v7, s14, v6
	v_lshl_or_b32 v4, v6, 16, v4
	global_store_dword v[0:1], v4, off
	global_load_dword v6, v16, s[12:13] offset:3600
	v_add_u32_e32 v4, 0xc00, v16
	ds_read2_b32 v[4:5], v4 offset0:132 offset1:232
	s_waitcnt lgkmcnt(0)
	v_lshrrev_b32_e32 v7, 16, v4
	s_waitcnt vmcnt(0)
	v_mul_f16_sdwa v8, v7, v6 dst_sel:DWORD dst_unused:UNUSED_PAD src0_sel:DWORD src1_sel:WORD_1
	v_mul_f16_sdwa v9, v4, v6 dst_sel:DWORD dst_unused:UNUSED_PAD src0_sel:DWORD src1_sel:WORD_1
	v_fma_f16 v4, v4, v6, v8
	v_fma_f16 v6, v6, v7, -v9
	v_cvt_f32_f16_e32 v4, v4
	v_cvt_f32_f16_e32 v8, v6
	v_mad_u64_u32 v[6:7], s[0:1], s8, v3, v[0:1]
	v_cvt_f64_f32_e32 v[0:1], v4
	v_cvt_f64_f32_e32 v[8:9], v8
	v_mul_f64 v[0:1], v[0:1], s[6:7]
	v_mul_f64 v[8:9], v[8:9], s[6:7]
	v_and_or_b32 v0, v1, s16, v0
	v_and_or_b32 v8, v9, s16, v8
	v_cmp_ne_u32_e32 vcc, 0, v0
	v_lshrrev_b32_e32 v4, 8, v1
	v_bfe_u32 v10, v1, 20, 11
	v_cndmask_b32_e64 v0, 0, 1, vcc
	v_cmp_ne_u32_e32 vcc, 0, v8
	v_lshrrev_b32_e32 v11, 8, v9
	v_bfe_u32 v12, v9, 20, 11
	v_sub_u32_e32 v13, 0x3f1, v10
	v_cndmask_b32_e64 v8, 0, 1, vcc
	v_and_or_b32 v0, v4, s15, v0
	v_sub_u32_e32 v14, 0x3f1, v12
	v_med3_i32 v4, v13, 0, 13
	v_and_or_b32 v8, v11, s15, v8
	v_or_b32_e32 v13, 0x1000, v0
	v_add_u32_e32 v10, 0xfffffc10, v10
	v_med3_i32 v11, v14, 0, 13
	v_cmp_ne_u32_e32 vcc, 0, v0
	v_or_b32_e32 v15, 0x1000, v8
	v_lshrrev_b32_e32 v18, v4, v13
	v_add_u32_e32 v12, 0xfffffc10, v12
	v_lshl_or_b32 v14, v10, 12, v0
	v_cndmask_b32_e64 v0, 0, 1, vcc
	v_cmp_ne_u32_e32 vcc, 0, v8
	v_lshrrev_b32_e32 v19, v11, v15
	v_lshlrev_b32_e32 v4, v4, v18
	v_lshl_or_b32 v17, v12, 12, v8
	v_cndmask_b32_e64 v8, 0, 1, vcc
	v_lshlrev_b32_e32 v11, v11, v19
	v_cmp_ne_u32_e32 vcc, v4, v13
	v_lshl_or_b32 v0, v0, 9, v2
	v_lshl_or_b32 v8, v8, 9, v2
	v_cndmask_b32_e64 v4, 0, 1, vcc
	v_cmp_ne_u32_e32 vcc, v11, v15
	v_or_b32_e32 v4, v18, v4
	v_and_b32_sdwa v1, v1, s14 dst_sel:DWORD dst_unused:UNUSED_PAD src0_sel:WORD_1 src1_sel:DWORD
	v_cndmask_b32_e64 v11, 0, 1, vcc
	v_cmp_gt_i32_e32 vcc, 1, v10
	v_or_b32_e32 v11, v19, v11
	v_lshrrev_b32_e32 v9, 16, v9
	v_cndmask_b32_e32 v4, v14, v4, vcc
	v_cmp_gt_i32_e32 vcc, 1, v12
	v_and_b32_e32 v13, 7, v4
	v_cmp_eq_u32_e64 s[0:1], 3, v13
	v_cndmask_b32_e32 v11, v17, v11, vcc
	v_cmp_lt_i32_e32 vcc, 5, v13
	v_lshrrev_b32_e32 v4, 2, v4
	v_and_b32_e32 v14, 7, v11
	s_or_b64 vcc, s[0:1], vcc
	v_cmp_lt_i32_e64 s[2:3], 5, v14
	v_cmp_eq_u32_e64 s[4:5], 3, v14
	v_addc_co_u32_e32 v4, vcc, 0, v4, vcc
	v_lshrrev_b32_e32 v11, 2, v11
	s_or_b64 vcc, s[4:5], s[2:3]
	v_addc_co_u32_e32 v11, vcc, 0, v11, vcc
	v_cmp_gt_i32_e32 vcc, 31, v10
	v_add_u32_e32 v7, s9, v7
	v_mov_b32_e32 v17, 0
	v_cndmask_b32_e32 v4, v2, v4, vcc
	v_cmp_gt_i32_e32 vcc, 31, v12
	s_movk_i32 s0, 0x1000
	s_nop 0
	v_cndmask_b32_e32 v11, v2, v11, vcc
	v_cmp_eq_u32_e32 vcc, s10, v10
	s_nop 1
	v_cndmask_b32_e32 v0, v4, v0, vcc
	v_cmp_eq_u32_e32 vcc, s10, v12
	v_bitop3_b32 v0, v1, s17, v0 bitop3:0xc8
	s_nop 0
	v_cndmask_b32_e32 v4, v11, v8, vcc
	v_and_or_b32 v4, v9, s14, v4
	v_lshl_or_b32 v0, v4, 16, v0
	global_store_dword v[6:7], v0, off
	global_load_dword v4, v16, s[12:13] offset:4000
	v_lshrrev_b32_e32 v8, 16, v5
	v_lshl_add_u64 v[0:1], s[12:13], 0, v[16:17]
	v_add_co_u32_e32 v0, vcc, s0, v0
	s_waitcnt vmcnt(0)
	v_mul_f16_sdwa v9, v8, v4 dst_sel:DWORD dst_unused:UNUSED_PAD src0_sel:DWORD src1_sel:WORD_1
	v_mul_f16_sdwa v10, v5, v4 dst_sel:DWORD dst_unused:UNUSED_PAD src0_sel:DWORD src1_sel:WORD_1
	v_fma_f16 v5, v5, v4, v9
	v_fma_f16 v4, v4, v8, -v10
	v_cvt_f32_f16_e32 v8, v5
	v_cvt_f32_f16_e32 v9, v4
	v_mad_u64_u32 v[4:5], s[0:1], s8, v3, v[6:7]
	v_cvt_f64_f32_e32 v[6:7], v8
	v_cvt_f64_f32_e32 v[8:9], v9
	v_mul_f64 v[6:7], v[6:7], s[6:7]
	v_addc_co_u32_e32 v1, vcc, 0, v1, vcc
	v_mul_f64 v[8:9], v[8:9], s[6:7]
	v_and_or_b32 v6, v7, s16, v6
	v_and_or_b32 v8, v9, s16, v8
	v_cmp_ne_u32_e32 vcc, 0, v6
	v_lshrrev_b32_e32 v10, 8, v7
	v_bfe_u32 v11, v7, 20, 11
	v_cndmask_b32_e64 v6, 0, 1, vcc
	v_cmp_ne_u32_e32 vcc, 0, v8
	v_lshrrev_b32_e32 v12, 8, v9
	v_bfe_u32 v13, v9, 20, 11
	v_sub_u32_e32 v14, 0x3f1, v11
	v_cndmask_b32_e64 v8, 0, 1, vcc
	v_and_or_b32 v6, v10, s15, v6
	v_sub_u32_e32 v15, 0x3f1, v13
	v_med3_i32 v10, v14, 0, 13
	v_and_or_b32 v8, v12, s15, v8
	v_or_b32_e32 v14, 0x1000, v6
	v_add_u32_e32 v11, 0xfffffc10, v11
	v_med3_i32 v12, v15, 0, 13
	v_cmp_ne_u32_e32 vcc, 0, v6
	v_or_b32_e32 v17, 0x1000, v8
	v_lshrrev_b32_e32 v19, v10, v14
	v_add_u32_e32 v13, 0xfffffc10, v13
	v_lshl_or_b32 v15, v11, 12, v6
	v_cndmask_b32_e64 v6, 0, 1, vcc
	v_cmp_ne_u32_e32 vcc, 0, v8
	v_lshrrev_b32_e32 v21, v12, v17
	v_lshlrev_b32_e32 v10, v10, v19
	v_lshl_or_b32 v18, v13, 12, v8
	v_cndmask_b32_e64 v8, 0, 1, vcc
	v_lshlrev_b32_e32 v12, v12, v21
	v_cmp_ne_u32_e32 vcc, v10, v14
	v_lshl_or_b32 v6, v6, 9, v2
	v_lshl_or_b32 v8, v8, 9, v2
	v_cndmask_b32_e64 v10, 0, 1, vcc
	v_cmp_ne_u32_e32 vcc, v12, v17
	v_or_b32_e32 v10, v19, v10
	v_and_b32_sdwa v7, v7, s14 dst_sel:DWORD dst_unused:UNUSED_PAD src0_sel:WORD_1 src1_sel:DWORD
	v_cndmask_b32_e64 v12, 0, 1, vcc
	v_cmp_gt_i32_e32 vcc, 1, v11
	v_or_b32_e32 v12, v21, v12
	v_lshrrev_b32_e32 v9, 16, v9
	v_cndmask_b32_e32 v10, v15, v10, vcc
	v_cmp_gt_i32_e32 vcc, 1, v13
	v_and_b32_e32 v14, 7, v10
	v_cmp_eq_u32_e64 s[0:1], 3, v14
	v_cndmask_b32_e32 v12, v18, v12, vcc
	v_cmp_lt_i32_e32 vcc, 5, v14
	v_lshrrev_b32_e32 v10, 2, v10
	v_and_b32_e32 v15, 7, v12
	s_or_b64 vcc, s[0:1], vcc
	v_cmp_lt_i32_e64 s[2:3], 5, v15
	v_cmp_eq_u32_e64 s[4:5], 3, v15
	v_addc_co_u32_e32 v10, vcc, 0, v10, vcc
	v_lshrrev_b32_e32 v12, 2, v12
	s_or_b64 vcc, s[4:5], s[2:3]
	v_addc_co_u32_e32 v12, vcc, 0, v12, vcc
	v_cmp_gt_i32_e32 vcc, 31, v11
	v_add_u32_e32 v5, s9, v5
	s_nop 0
	v_cndmask_b32_e32 v10, v2, v10, vcc
	v_cmp_gt_i32_e32 vcc, 31, v13
	s_nop 1
	v_cndmask_b32_e32 v12, v2, v12, vcc
	v_cmp_eq_u32_e32 vcc, s10, v11
	s_nop 1
	v_cndmask_b32_e32 v6, v10, v6, vcc
	v_cmp_eq_u32_e32 vcc, s10, v13
	v_bitop3_b32 v6, v7, s17, v6 bitop3:0xc8
	s_nop 0
	v_cndmask_b32_e32 v8, v12, v8, vcc
	v_and_or_b32 v8, v9, s14, v8
	v_lshl_or_b32 v6, v8, 16, v6
	global_store_dword v[4:5], v6, off
	global_load_dword v8, v[0:1], off offset:304
	v_add_u32_e32 v6, 0x1000, v16
	ds_read2_b32 v[6:7], v6 offset0:76 offset1:176
	v_mad_u64_u32 v[4:5], s[0:1], s8, v3, v[4:5]
	v_add_u32_e32 v5, s9, v5
	s_waitcnt lgkmcnt(0)
	v_lshrrev_b32_e32 v9, 16, v6
	s_waitcnt vmcnt(0)
	v_mul_f16_sdwa v10, v9, v8 dst_sel:DWORD dst_unused:UNUSED_PAD src0_sel:DWORD src1_sel:WORD_1
	v_mul_f16_sdwa v11, v6, v8 dst_sel:DWORD dst_unused:UNUSED_PAD src0_sel:DWORD src1_sel:WORD_1
	v_fma_f16 v6, v6, v8, v10
	v_fma_f16 v8, v8, v9, -v11
	v_cvt_f32_f16_e32 v6, v6
	v_cvt_f32_f16_e32 v10, v8
	v_cvt_f64_f32_e32 v[8:9], v6
	v_cvt_f64_f32_e32 v[10:11], v10
	v_mul_f64 v[8:9], v[8:9], s[6:7]
	v_mul_f64 v[10:11], v[10:11], s[6:7]
	v_and_or_b32 v6, v9, s16, v8
	v_and_or_b32 v10, v11, s16, v10
	v_cmp_ne_u32_e32 vcc, 0, v6
	v_lshrrev_b32_e32 v8, 8, v9
	v_bfe_u32 v12, v9, 20, 11
	v_cndmask_b32_e64 v6, 0, 1, vcc
	v_cmp_ne_u32_e32 vcc, 0, v10
	v_lshrrev_b32_e32 v13, 8, v11
	v_bfe_u32 v14, v11, 20, 11
	v_sub_u32_e32 v15, 0x3f1, v12
	v_cndmask_b32_e64 v10, 0, 1, vcc
	v_and_or_b32 v6, v8, s15, v6
	v_sub_u32_e32 v17, 0x3f1, v14
	v_med3_i32 v8, v15, 0, 13
	v_and_or_b32 v10, v13, s15, v10
	v_or_b32_e32 v15, 0x1000, v6
	v_add_u32_e32 v12, 0xfffffc10, v12
	v_med3_i32 v13, v17, 0, 13
	v_cmp_ne_u32_e32 vcc, 0, v6
	v_or_b32_e32 v18, 0x1000, v10
	v_lshrrev_b32_e32 v21, v8, v15
	v_add_u32_e32 v14, 0xfffffc10, v14
	v_lshl_or_b32 v17, v12, 12, v6
	v_cndmask_b32_e64 v6, 0, 1, vcc
	v_cmp_ne_u32_e32 vcc, 0, v10
	v_lshrrev_b32_e32 v22, v13, v18
	v_lshlrev_b32_e32 v8, v8, v21
	v_lshl_or_b32 v19, v14, 12, v10
	v_cndmask_b32_e64 v10, 0, 1, vcc
	v_lshlrev_b32_e32 v13, v13, v22
	v_cmp_ne_u32_e32 vcc, v8, v15
	v_lshl_or_b32 v6, v6, 9, v2
	v_lshl_or_b32 v10, v10, 9, v2
	v_cndmask_b32_e64 v8, 0, 1, vcc
	v_cmp_ne_u32_e32 vcc, v13, v18
	v_or_b32_e32 v8, v21, v8
	v_and_b32_sdwa v9, v9, s14 dst_sel:DWORD dst_unused:UNUSED_PAD src0_sel:WORD_1 src1_sel:DWORD
	v_cndmask_b32_e64 v13, 0, 1, vcc
	v_cmp_gt_i32_e32 vcc, 1, v12
	v_or_b32_e32 v13, v22, v13
	v_lshrrev_b32_e32 v11, 16, v11
	v_cndmask_b32_e32 v8, v17, v8, vcc
	v_cmp_gt_i32_e32 vcc, 1, v14
	v_and_b32_e32 v15, 7, v8
	v_cmp_eq_u32_e64 s[0:1], 3, v15
	v_cndmask_b32_e32 v13, v19, v13, vcc
	v_cmp_lt_i32_e32 vcc, 5, v15
	v_lshrrev_b32_e32 v8, 2, v8
	v_and_b32_e32 v17, 7, v13
	s_or_b64 vcc, s[0:1], vcc
	v_cmp_lt_i32_e64 s[2:3], 5, v17
	v_cmp_eq_u32_e64 s[4:5], 3, v17
	v_addc_co_u32_e32 v8, vcc, 0, v8, vcc
	v_lshrrev_b32_e32 v13, 2, v13
	s_or_b64 vcc, s[4:5], s[2:3]
	v_addc_co_u32_e32 v13, vcc, 0, v13, vcc
	v_cmp_gt_i32_e32 vcc, 31, v12
	s_nop 1
	v_cndmask_b32_e32 v8, v2, v8, vcc
	v_cmp_gt_i32_e32 vcc, 31, v14
	s_nop 1
	v_cndmask_b32_e32 v13, v2, v13, vcc
	v_cmp_eq_u32_e32 vcc, s10, v12
	s_nop 1
	v_cndmask_b32_e32 v6, v8, v6, vcc
	v_cmp_eq_u32_e32 vcc, s10, v14
	v_bitop3_b32 v6, v9, s17, v6 bitop3:0xc8
	s_nop 0
	v_cndmask_b32_e32 v8, v13, v10, vcc
	v_and_or_b32 v8, v11, s14, v8
	v_lshl_or_b32 v6, v8, 16, v6
	global_store_dword v[4:5], v6, off
	global_load_dword v6, v[0:1], off offset:704
	v_lshrrev_b32_e32 v8, 16, v7
	v_mad_u64_u32 v[4:5], s[0:1], s8, v3, v[4:5]
	v_add_u32_e32 v5, s9, v5
	s_waitcnt vmcnt(0)
	v_mul_f16_sdwa v9, v8, v6 dst_sel:DWORD dst_unused:UNUSED_PAD src0_sel:DWORD src1_sel:WORD_1
	v_mul_f16_sdwa v10, v7, v6 dst_sel:DWORD dst_unused:UNUSED_PAD src0_sel:DWORD src1_sel:WORD_1
	v_fma_f16 v7, v7, v6, v9
	v_fma_f16 v6, v6, v8, -v10
	v_cvt_f32_f16_e32 v7, v7
	v_cvt_f32_f16_e32 v8, v6
	v_cvt_f64_f32_e32 v[6:7], v7
	v_cvt_f64_f32_e32 v[8:9], v8
	v_mul_f64 v[6:7], v[6:7], s[6:7]
	v_mul_f64 v[8:9], v[8:9], s[6:7]
	v_and_or_b32 v6, v7, s16, v6
	v_and_or_b32 v8, v9, s16, v8
	v_cmp_ne_u32_e32 vcc, 0, v6
	v_lshrrev_b32_e32 v10, 8, v7
	v_bfe_u32 v11, v7, 20, 11
	v_cndmask_b32_e64 v6, 0, 1, vcc
	v_cmp_ne_u32_e32 vcc, 0, v8
	v_lshrrev_b32_e32 v12, 8, v9
	v_bfe_u32 v13, v9, 20, 11
	v_sub_u32_e32 v14, 0x3f1, v11
	v_cndmask_b32_e64 v8, 0, 1, vcc
	v_and_or_b32 v6, v10, s15, v6
	v_sub_u32_e32 v15, 0x3f1, v13
	v_med3_i32 v10, v14, 0, 13
	v_and_or_b32 v8, v12, s15, v8
	v_or_b32_e32 v14, 0x1000, v6
	v_add_u32_e32 v11, 0xfffffc10, v11
	v_med3_i32 v12, v15, 0, 13
	v_cmp_ne_u32_e32 vcc, 0, v6
	v_or_b32_e32 v17, 0x1000, v8
	v_lshrrev_b32_e32 v19, v10, v14
	v_add_u32_e32 v13, 0xfffffc10, v13
	v_lshl_or_b32 v15, v11, 12, v6
	v_cndmask_b32_e64 v6, 0, 1, vcc
	v_cmp_ne_u32_e32 vcc, 0, v8
	v_lshrrev_b32_e32 v21, v12, v17
	v_lshlrev_b32_e32 v10, v10, v19
	v_lshl_or_b32 v18, v13, 12, v8
	v_cndmask_b32_e64 v8, 0, 1, vcc
	v_lshlrev_b32_e32 v12, v12, v21
	v_cmp_ne_u32_e32 vcc, v10, v14
	v_lshl_or_b32 v6, v6, 9, v2
	v_lshl_or_b32 v8, v8, 9, v2
	v_cndmask_b32_e64 v10, 0, 1, vcc
	v_cmp_ne_u32_e32 vcc, v12, v17
	v_or_b32_e32 v10, v19, v10
	v_and_b32_sdwa v7, v7, s14 dst_sel:DWORD dst_unused:UNUSED_PAD src0_sel:WORD_1 src1_sel:DWORD
	v_cndmask_b32_e64 v12, 0, 1, vcc
	v_cmp_gt_i32_e32 vcc, 1, v11
	v_or_b32_e32 v12, v21, v12
	v_lshrrev_b32_e32 v9, 16, v9
	v_cndmask_b32_e32 v10, v15, v10, vcc
	v_cmp_gt_i32_e32 vcc, 1, v13
	v_and_b32_e32 v14, 7, v10
	v_cmp_eq_u32_e64 s[0:1], 3, v14
	v_cndmask_b32_e32 v12, v18, v12, vcc
	v_cmp_lt_i32_e32 vcc, 5, v14
	v_lshrrev_b32_e32 v10, 2, v10
	v_and_b32_e32 v15, 7, v12
	s_or_b64 vcc, s[0:1], vcc
	v_cmp_lt_i32_e64 s[2:3], 5, v15
	v_cmp_eq_u32_e64 s[4:5], 3, v15
	v_addc_co_u32_e32 v10, vcc, 0, v10, vcc
	v_lshrrev_b32_e32 v12, 2, v12
	s_or_b64 vcc, s[4:5], s[2:3]
	v_addc_co_u32_e32 v12, vcc, 0, v12, vcc
	v_cmp_gt_i32_e32 vcc, 31, v11
	s_nop 1
	v_cndmask_b32_e32 v10, v2, v10, vcc
	v_cmp_gt_i32_e32 vcc, 31, v13
	s_nop 1
	v_cndmask_b32_e32 v12, v2, v12, vcc
	v_cmp_eq_u32_e32 vcc, s10, v11
	s_nop 1
	v_cndmask_b32_e32 v6, v10, v6, vcc
	v_cmp_eq_u32_e32 vcc, s10, v13
	v_bitop3_b32 v6, v7, s17, v6 bitop3:0xc8
	s_nop 0
	v_cndmask_b32_e32 v8, v12, v8, vcc
	v_and_or_b32 v8, v9, s14, v8
	v_lshl_or_b32 v6, v8, 16, v6
	global_store_dword v[4:5], v6, off
	global_load_dword v8, v[0:1], off offset:1104
	ds_read2_b32 v[6:7], v20 offset0:20 offset1:120
	v_mad_u64_u32 v[4:5], s[0:1], s8, v3, v[4:5]
	v_add_u32_e32 v5, s9, v5
	s_waitcnt lgkmcnt(0)
	v_lshrrev_b32_e32 v9, 16, v6
	s_waitcnt vmcnt(0)
	v_mul_f16_sdwa v10, v9, v8 dst_sel:DWORD dst_unused:UNUSED_PAD src0_sel:DWORD src1_sel:WORD_1
	v_mul_f16_sdwa v11, v6, v8 dst_sel:DWORD dst_unused:UNUSED_PAD src0_sel:DWORD src1_sel:WORD_1
	v_fma_f16 v6, v6, v8, v10
	v_fma_f16 v8, v8, v9, -v11
	v_cvt_f32_f16_e32 v6, v6
	v_cvt_f32_f16_e32 v10, v8
	v_cvt_f64_f32_e32 v[8:9], v6
	v_cvt_f64_f32_e32 v[10:11], v10
	v_mul_f64 v[8:9], v[8:9], s[6:7]
	v_mul_f64 v[10:11], v[10:11], s[6:7]
	v_and_or_b32 v6, v9, s16, v8
	v_and_or_b32 v10, v11, s16, v10
	v_cmp_ne_u32_e32 vcc, 0, v6
	v_lshrrev_b32_e32 v8, 8, v9
	v_bfe_u32 v12, v9, 20, 11
	v_cndmask_b32_e64 v6, 0, 1, vcc
	v_cmp_ne_u32_e32 vcc, 0, v10
	v_lshrrev_b32_e32 v13, 8, v11
	v_bfe_u32 v14, v11, 20, 11
	v_sub_u32_e32 v15, 0x3f1, v12
	v_cndmask_b32_e64 v10, 0, 1, vcc
	v_and_or_b32 v6, v8, s15, v6
	v_sub_u32_e32 v17, 0x3f1, v14
	v_med3_i32 v8, v15, 0, 13
	v_and_or_b32 v10, v13, s15, v10
	v_or_b32_e32 v15, 0x1000, v6
	v_add_u32_e32 v12, 0xfffffc10, v12
	v_med3_i32 v13, v17, 0, 13
	v_cmp_ne_u32_e32 vcc, 0, v6
	v_or_b32_e32 v18, 0x1000, v10
	v_lshrrev_b32_e32 v20, v8, v15
	v_add_u32_e32 v14, 0xfffffc10, v14
	v_lshl_or_b32 v17, v12, 12, v6
	v_cndmask_b32_e64 v6, 0, 1, vcc
	v_cmp_ne_u32_e32 vcc, 0, v10
	v_lshrrev_b32_e32 v21, v13, v18
	v_lshlrev_b32_e32 v8, v8, v20
	v_lshl_or_b32 v19, v14, 12, v10
	v_cndmask_b32_e64 v10, 0, 1, vcc
	v_lshlrev_b32_e32 v13, v13, v21
	v_cmp_ne_u32_e32 vcc, v8, v15
	v_lshl_or_b32 v6, v6, 9, v2
	v_lshl_or_b32 v10, v10, 9, v2
	v_cndmask_b32_e64 v8, 0, 1, vcc
	v_cmp_ne_u32_e32 vcc, v13, v18
	v_or_b32_e32 v8, v20, v8
	v_and_b32_sdwa v9, v9, s14 dst_sel:DWORD dst_unused:UNUSED_PAD src0_sel:WORD_1 src1_sel:DWORD
	v_cndmask_b32_e64 v13, 0, 1, vcc
	v_cmp_gt_i32_e32 vcc, 1, v12
	v_or_b32_e32 v13, v21, v13
	v_lshrrev_b32_e32 v11, 16, v11
	v_cndmask_b32_e32 v8, v17, v8, vcc
	v_cmp_gt_i32_e32 vcc, 1, v14
	v_and_b32_e32 v15, 7, v8
	v_cmp_eq_u32_e64 s[0:1], 3, v15
	v_cndmask_b32_e32 v13, v19, v13, vcc
	v_cmp_lt_i32_e32 vcc, 5, v15
	v_lshrrev_b32_e32 v8, 2, v8
	v_and_b32_e32 v17, 7, v13
	s_or_b64 vcc, s[0:1], vcc
	v_cmp_lt_i32_e64 s[2:3], 5, v17
	v_cmp_eq_u32_e64 s[4:5], 3, v17
	v_addc_co_u32_e32 v8, vcc, 0, v8, vcc
	v_lshrrev_b32_e32 v13, 2, v13
	s_or_b64 vcc, s[4:5], s[2:3]
	v_addc_co_u32_e32 v13, vcc, 0, v13, vcc
	v_cmp_gt_i32_e32 vcc, 31, v12
	s_nop 1
	v_cndmask_b32_e32 v8, v2, v8, vcc
	v_cmp_gt_i32_e32 vcc, 31, v14
	s_nop 1
	v_cndmask_b32_e32 v13, v2, v13, vcc
	v_cmp_eq_u32_e32 vcc, s10, v12
	s_nop 1
	v_cndmask_b32_e32 v6, v8, v6, vcc
	v_cmp_eq_u32_e32 vcc, s10, v14
	v_bitop3_b32 v6, v9, s17, v6 bitop3:0xc8
	s_nop 0
	v_cndmask_b32_e32 v8, v13, v10, vcc
	v_and_or_b32 v8, v11, s14, v8
	v_lshl_or_b32 v6, v8, 16, v6
	global_store_dword v[4:5], v6, off
	global_load_dword v6, v[0:1], off offset:1504
	v_lshrrev_b32_e32 v8, 16, v7
	v_mad_u64_u32 v[4:5], s[0:1], s8, v3, v[4:5]
	v_add_u32_e32 v5, s9, v5
	s_waitcnt vmcnt(0)
	v_mul_f16_sdwa v9, v8, v6 dst_sel:DWORD dst_unused:UNUSED_PAD src0_sel:DWORD src1_sel:WORD_1
	v_mul_f16_sdwa v10, v7, v6 dst_sel:DWORD dst_unused:UNUSED_PAD src0_sel:DWORD src1_sel:WORD_1
	v_fma_f16 v7, v7, v6, v9
	v_fma_f16 v6, v6, v8, -v10
	v_cvt_f32_f16_e32 v7, v7
	v_cvt_f32_f16_e32 v8, v6
	v_cvt_f64_f32_e32 v[6:7], v7
	v_cvt_f64_f32_e32 v[8:9], v8
	v_mul_f64 v[6:7], v[6:7], s[6:7]
	v_mul_f64 v[8:9], v[8:9], s[6:7]
	v_and_or_b32 v6, v7, s16, v6
	v_and_or_b32 v8, v9, s16, v8
	v_cmp_ne_u32_e32 vcc, 0, v6
	v_lshrrev_b32_e32 v10, 8, v7
	v_bfe_u32 v11, v7, 20, 11
	v_cndmask_b32_e64 v6, 0, 1, vcc
	v_cmp_ne_u32_e32 vcc, 0, v8
	v_lshrrev_b32_e32 v12, 8, v9
	v_bfe_u32 v13, v9, 20, 11
	v_sub_u32_e32 v14, 0x3f1, v11
	v_cndmask_b32_e64 v8, 0, 1, vcc
	v_and_or_b32 v6, v10, s15, v6
	v_sub_u32_e32 v15, 0x3f1, v13
	v_med3_i32 v10, v14, 0, 13
	v_and_or_b32 v8, v12, s15, v8
	v_or_b32_e32 v14, 0x1000, v6
	v_add_u32_e32 v11, 0xfffffc10, v11
	v_med3_i32 v12, v15, 0, 13
	v_cmp_ne_u32_e32 vcc, 0, v6
	v_or_b32_e32 v17, 0x1000, v8
	v_lshrrev_b32_e32 v19, v10, v14
	v_add_u32_e32 v13, 0xfffffc10, v13
	v_lshl_or_b32 v15, v11, 12, v6
	v_cndmask_b32_e64 v6, 0, 1, vcc
	v_cmp_ne_u32_e32 vcc, 0, v8
	v_lshrrev_b32_e32 v20, v12, v17
	v_lshlrev_b32_e32 v10, v10, v19
	v_lshl_or_b32 v18, v13, 12, v8
	v_cndmask_b32_e64 v8, 0, 1, vcc
	v_lshlrev_b32_e32 v12, v12, v20
	v_cmp_ne_u32_e32 vcc, v10, v14
	v_lshl_or_b32 v6, v6, 9, v2
	v_lshl_or_b32 v8, v8, 9, v2
	v_cndmask_b32_e64 v10, 0, 1, vcc
	v_cmp_ne_u32_e32 vcc, v12, v17
	v_or_b32_e32 v10, v19, v10
	v_and_b32_sdwa v7, v7, s14 dst_sel:DWORD dst_unused:UNUSED_PAD src0_sel:WORD_1 src1_sel:DWORD
	v_cndmask_b32_e64 v12, 0, 1, vcc
	v_cmp_gt_i32_e32 vcc, 1, v11
	v_or_b32_e32 v12, v20, v12
	v_lshrrev_b32_e32 v9, 16, v9
	v_cndmask_b32_e32 v10, v15, v10, vcc
	v_cmp_gt_i32_e32 vcc, 1, v13
	v_and_b32_e32 v14, 7, v10
	v_cmp_eq_u32_e64 s[0:1], 3, v14
	v_cndmask_b32_e32 v12, v18, v12, vcc
	v_cmp_lt_i32_e32 vcc, 5, v14
	v_lshrrev_b32_e32 v10, 2, v10
	v_and_b32_e32 v15, 7, v12
	s_or_b64 vcc, s[0:1], vcc
	v_cmp_lt_i32_e64 s[2:3], 5, v15
	v_cmp_eq_u32_e64 s[4:5], 3, v15
	v_addc_co_u32_e32 v10, vcc, 0, v10, vcc
	v_lshrrev_b32_e32 v12, 2, v12
	s_or_b64 vcc, s[4:5], s[2:3]
	v_addc_co_u32_e32 v12, vcc, 0, v12, vcc
	v_cmp_gt_i32_e32 vcc, 31, v11
	s_nop 1
	v_cndmask_b32_e32 v10, v2, v10, vcc
	v_cmp_gt_i32_e32 vcc, 31, v13
	s_nop 1
	v_cndmask_b32_e32 v12, v2, v12, vcc
	v_cmp_eq_u32_e32 vcc, s10, v11
	s_nop 1
	v_cndmask_b32_e32 v6, v10, v6, vcc
	v_cmp_eq_u32_e32 vcc, s10, v13
	v_bitop3_b32 v6, v7, s17, v6 bitop3:0xc8
	s_nop 0
	v_cndmask_b32_e32 v8, v12, v8, vcc
	v_and_or_b32 v8, v9, s14, v8
	v_lshl_or_b32 v6, v8, 16, v6
	global_store_dword v[4:5], v6, off
	global_load_dword v8, v[0:1], off offset:1904
	v_add_u32_e32 v6, 0x1600, v16
	ds_read2_b32 v[6:7], v6 offset0:92 offset1:192
	v_mad_u64_u32 v[4:5], s[0:1], s8, v3, v[4:5]
	v_add_u32_e32 v5, s9, v5
	s_waitcnt lgkmcnt(0)
	v_lshrrev_b32_e32 v9, 16, v6
	s_waitcnt vmcnt(0)
	v_mul_f16_sdwa v10, v9, v8 dst_sel:DWORD dst_unused:UNUSED_PAD src0_sel:DWORD src1_sel:WORD_1
	v_mul_f16_sdwa v11, v6, v8 dst_sel:DWORD dst_unused:UNUSED_PAD src0_sel:DWORD src1_sel:WORD_1
	v_fma_f16 v6, v6, v8, v10
	v_fma_f16 v8, v8, v9, -v11
	v_cvt_f32_f16_e32 v6, v6
	v_cvt_f32_f16_e32 v10, v8
	v_cvt_f64_f32_e32 v[8:9], v6
	v_cvt_f64_f32_e32 v[10:11], v10
	v_mul_f64 v[8:9], v[8:9], s[6:7]
	v_mul_f64 v[10:11], v[10:11], s[6:7]
	v_and_or_b32 v6, v9, s16, v8
	v_and_or_b32 v10, v11, s16, v10
	v_cmp_ne_u32_e32 vcc, 0, v6
	v_lshrrev_b32_e32 v8, 8, v9
	v_bfe_u32 v12, v9, 20, 11
	v_cndmask_b32_e64 v6, 0, 1, vcc
	v_cmp_ne_u32_e32 vcc, 0, v10
	v_lshrrev_b32_e32 v13, 8, v11
	v_bfe_u32 v14, v11, 20, 11
	v_sub_u32_e32 v15, 0x3f1, v12
	v_cndmask_b32_e64 v10, 0, 1, vcc
	v_and_or_b32 v6, v8, s15, v6
	v_sub_u32_e32 v16, 0x3f1, v14
	v_med3_i32 v8, v15, 0, 13
	v_and_or_b32 v10, v13, s15, v10
	v_or_b32_e32 v15, 0x1000, v6
	v_add_u32_e32 v12, 0xfffffc10, v12
	v_med3_i32 v13, v16, 0, 13
	v_cmp_ne_u32_e32 vcc, 0, v6
	v_or_b32_e32 v17, 0x1000, v10
	v_lshrrev_b32_e32 v19, v8, v15
	v_add_u32_e32 v14, 0xfffffc10, v14
	v_lshl_or_b32 v16, v12, 12, v6
	v_cndmask_b32_e64 v6, 0, 1, vcc
	v_cmp_ne_u32_e32 vcc, 0, v10
	v_lshrrev_b32_e32 v20, v13, v17
	v_lshlrev_b32_e32 v8, v8, v19
	v_lshl_or_b32 v18, v14, 12, v10
	v_cndmask_b32_e64 v10, 0, 1, vcc
	v_lshlrev_b32_e32 v13, v13, v20
	v_cmp_ne_u32_e32 vcc, v8, v15
	v_lshl_or_b32 v6, v6, 9, v2
	v_lshl_or_b32 v10, v10, 9, v2
	v_cndmask_b32_e64 v8, 0, 1, vcc
	v_cmp_ne_u32_e32 vcc, v13, v17
	v_or_b32_e32 v8, v19, v8
	v_and_b32_sdwa v9, v9, s14 dst_sel:DWORD dst_unused:UNUSED_PAD src0_sel:WORD_1 src1_sel:DWORD
	v_cndmask_b32_e64 v13, 0, 1, vcc
	v_cmp_gt_i32_e32 vcc, 1, v12
	v_or_b32_e32 v13, v20, v13
	v_lshrrev_b32_e32 v11, 16, v11
	v_cndmask_b32_e32 v8, v16, v8, vcc
	v_cmp_gt_i32_e32 vcc, 1, v14
	v_and_b32_e32 v15, 7, v8
	v_cmp_eq_u32_e64 s[0:1], 3, v15
	v_cndmask_b32_e32 v13, v18, v13, vcc
	v_cmp_lt_i32_e32 vcc, 5, v15
	v_lshrrev_b32_e32 v8, 2, v8
	v_and_b32_e32 v16, 7, v13
	s_or_b64 vcc, s[0:1], vcc
	v_cmp_lt_i32_e64 s[2:3], 5, v16
	v_cmp_eq_u32_e64 s[4:5], 3, v16
	v_addc_co_u32_e32 v8, vcc, 0, v8, vcc
	v_lshrrev_b32_e32 v13, 2, v13
	s_or_b64 vcc, s[4:5], s[2:3]
	v_addc_co_u32_e32 v13, vcc, 0, v13, vcc
	v_cmp_gt_i32_e32 vcc, 31, v12
	s_nop 1
	v_cndmask_b32_e32 v8, v2, v8, vcc
	v_cmp_gt_i32_e32 vcc, 31, v14
	s_nop 1
	v_cndmask_b32_e32 v13, v2, v13, vcc
	v_cmp_eq_u32_e32 vcc, s10, v12
	s_nop 1
	v_cndmask_b32_e32 v6, v8, v6, vcc
	v_cmp_eq_u32_e32 vcc, s10, v14
	v_bitop3_b32 v6, v9, s17, v6 bitop3:0xc8
	s_nop 0
	v_cndmask_b32_e32 v8, v13, v10, vcc
	v_and_or_b32 v8, v11, s14, v8
	v_lshl_or_b32 v6, v8, 16, v6
	global_store_dword v[4:5], v6, off
	global_load_dword v0, v[0:1], off offset:2304
	v_lshrrev_b32_e32 v1, 16, v7
	s_waitcnt vmcnt(0)
	v_mul_f16_sdwa v6, v1, v0 dst_sel:DWORD dst_unused:UNUSED_PAD src0_sel:DWORD src1_sel:WORD_1
	v_mul_f16_sdwa v8, v7, v0 dst_sel:DWORD dst_unused:UNUSED_PAD src0_sel:DWORD src1_sel:WORD_1
	v_fma_f16 v6, v7, v0, v6
	v_fma_f16 v0, v0, v1, -v8
	v_cvt_f32_f16_e32 v6, v6
	v_cvt_f32_f16_e32 v7, v0
	v_mad_u64_u32 v[0:1], s[0:1], s8, v3, v[4:5]
	v_cvt_f64_f32_e32 v[4:5], v6
	v_cvt_f64_f32_e32 v[6:7], v7
	v_mul_f64 v[4:5], v[4:5], s[6:7]
	v_mul_f64 v[6:7], v[6:7], s[6:7]
	v_and_or_b32 v3, v5, s16, v4
	v_and_or_b32 v6, v7, s16, v6
	v_cmp_ne_u32_e32 vcc, 0, v3
	v_lshrrev_b32_e32 v4, 8, v5
	v_bfe_u32 v8, v5, 20, 11
	v_cndmask_b32_e64 v3, 0, 1, vcc
	v_cmp_ne_u32_e32 vcc, 0, v6
	v_lshrrev_b32_e32 v9, 8, v7
	v_bfe_u32 v10, v7, 20, 11
	v_sub_u32_e32 v11, 0x3f1, v8
	v_cndmask_b32_e64 v6, 0, 1, vcc
	v_and_or_b32 v3, v4, s15, v3
	v_sub_u32_e32 v12, 0x3f1, v10
	v_med3_i32 v4, v11, 0, 13
	v_and_or_b32 v6, v9, s15, v6
	v_or_b32_e32 v11, 0x1000, v3
	v_add_u32_e32 v8, 0xfffffc10, v8
	v_med3_i32 v9, v12, 0, 13
	v_cmp_ne_u32_e32 vcc, 0, v3
	v_or_b32_e32 v13, 0x1000, v6
	v_lshrrev_b32_e32 v15, v4, v11
	v_add_u32_e32 v10, 0xfffffc10, v10
	v_lshl_or_b32 v12, v8, 12, v3
	v_cndmask_b32_e64 v3, 0, 1, vcc
	v_cmp_ne_u32_e32 vcc, 0, v6
	v_lshrrev_b32_e32 v16, v9, v13
	v_lshlrev_b32_e32 v4, v4, v15
	v_lshl_or_b32 v14, v10, 12, v6
	v_cndmask_b32_e64 v6, 0, 1, vcc
	v_lshlrev_b32_e32 v9, v9, v16
	v_cmp_ne_u32_e32 vcc, v4, v11
	v_lshl_or_b32 v3, v3, 9, v2
	v_lshl_or_b32 v6, v6, 9, v2
	v_cndmask_b32_e64 v4, 0, 1, vcc
	v_cmp_ne_u32_e32 vcc, v9, v13
	v_or_b32_e32 v4, v15, v4
	v_and_b32_sdwa v5, v5, s14 dst_sel:DWORD dst_unused:UNUSED_PAD src0_sel:WORD_1 src1_sel:DWORD
	v_cndmask_b32_e64 v9, 0, 1, vcc
	v_cmp_gt_i32_e32 vcc, 1, v8
	v_or_b32_e32 v9, v16, v9
	v_lshrrev_b32_e32 v7, 16, v7
	v_cndmask_b32_e32 v4, v12, v4, vcc
	v_cmp_gt_i32_e32 vcc, 1, v10
	v_and_b32_e32 v11, 7, v4
	v_cmp_eq_u32_e64 s[0:1], 3, v11
	v_cndmask_b32_e32 v9, v14, v9, vcc
	v_cmp_lt_i32_e32 vcc, 5, v11
	v_lshrrev_b32_e32 v4, 2, v4
	v_and_b32_e32 v12, 7, v9
	s_or_b64 vcc, s[0:1], vcc
	v_cmp_lt_i32_e64 s[2:3], 5, v12
	v_cmp_eq_u32_e64 s[4:5], 3, v12
	v_addc_co_u32_e32 v4, vcc, 0, v4, vcc
	v_lshrrev_b32_e32 v9, 2, v9
	s_or_b64 vcc, s[4:5], s[2:3]
	v_addc_co_u32_e32 v9, vcc, 0, v9, vcc
	v_cmp_gt_i32_e32 vcc, 31, v8
	v_add_u32_e32 v1, s9, v1
	s_nop 0
	v_cndmask_b32_e32 v4, v2, v4, vcc
	v_cmp_gt_i32_e32 vcc, 31, v10
	s_nop 1
	v_cndmask_b32_e32 v2, v2, v9, vcc
	v_cmp_eq_u32_e32 vcc, s10, v8
	s_nop 1
	v_cndmask_b32_e32 v3, v4, v3, vcc
	v_cmp_eq_u32_e32 vcc, s10, v10
	v_bitop3_b32 v3, v5, s17, v3 bitop3:0xc8
	s_nop 0
	v_cndmask_b32_e32 v2, v2, v6, vcc
	v_and_or_b32 v2, v7, s14, v2
	v_lshl_or_b32 v2, v2, 16, v3
	global_store_dword v[0:1], v2, off
.LBB0_15:
	s_endpgm
	.section	.rodata,"a",@progbits
	.p2align	6, 0x0
	.amdhsa_kernel bluestein_single_back_len1700_dim1_half_op_CI_CI
		.amdhsa_group_segment_fixed_size 6800
		.amdhsa_private_segment_fixed_size 0
		.amdhsa_kernarg_size 104
		.amdhsa_user_sgpr_count 2
		.amdhsa_user_sgpr_dispatch_ptr 0
		.amdhsa_user_sgpr_queue_ptr 0
		.amdhsa_user_sgpr_kernarg_segment_ptr 1
		.amdhsa_user_sgpr_dispatch_id 0
		.amdhsa_user_sgpr_kernarg_preload_length 0
		.amdhsa_user_sgpr_kernarg_preload_offset 0
		.amdhsa_user_sgpr_private_segment_size 0
		.amdhsa_uses_dynamic_stack 0
		.amdhsa_enable_private_segment 0
		.amdhsa_system_sgpr_workgroup_id_x 1
		.amdhsa_system_sgpr_workgroup_id_y 0
		.amdhsa_system_sgpr_workgroup_id_z 0
		.amdhsa_system_sgpr_workgroup_info 0
		.amdhsa_system_vgpr_workitem_id 0
		.amdhsa_next_free_vgpr 255
		.amdhsa_next_free_sgpr 37
		.amdhsa_accum_offset 256
		.amdhsa_reserve_vcc 1
		.amdhsa_float_round_mode_32 0
		.amdhsa_float_round_mode_16_64 0
		.amdhsa_float_denorm_mode_32 3
		.amdhsa_float_denorm_mode_16_64 3
		.amdhsa_dx10_clamp 1
		.amdhsa_ieee_mode 1
		.amdhsa_fp16_overflow 0
		.amdhsa_tg_split 0
		.amdhsa_exception_fp_ieee_invalid_op 0
		.amdhsa_exception_fp_denorm_src 0
		.amdhsa_exception_fp_ieee_div_zero 0
		.amdhsa_exception_fp_ieee_overflow 0
		.amdhsa_exception_fp_ieee_underflow 0
		.amdhsa_exception_fp_ieee_inexact 0
		.amdhsa_exception_int_div_zero 0
	.end_amdhsa_kernel
	.text
.Lfunc_end0:
	.size	bluestein_single_back_len1700_dim1_half_op_CI_CI, .Lfunc_end0-bluestein_single_back_len1700_dim1_half_op_CI_CI
                                        ; -- End function
	.section	.AMDGPU.csdata,"",@progbits
; Kernel info:
; codeLenInByte = 28084
; NumSgprs: 43
; NumVgprs: 255
; NumAgprs: 0
; TotalNumVgprs: 255
; ScratchSize: 0
; MemoryBound: 0
; FloatMode: 240
; IeeeMode: 1
; LDSByteSize: 6800 bytes/workgroup (compile time only)
; SGPRBlocks: 5
; VGPRBlocks: 31
; NumSGPRsForWavesPerEU: 43
; NumVGPRsForWavesPerEU: 255
; AccumOffset: 256
; Occupancy: 2
; WaveLimiterHint : 1
; COMPUTE_PGM_RSRC2:SCRATCH_EN: 0
; COMPUTE_PGM_RSRC2:USER_SGPR: 2
; COMPUTE_PGM_RSRC2:TRAP_HANDLER: 0
; COMPUTE_PGM_RSRC2:TGID_X_EN: 1
; COMPUTE_PGM_RSRC2:TGID_Y_EN: 0
; COMPUTE_PGM_RSRC2:TGID_Z_EN: 0
; COMPUTE_PGM_RSRC2:TIDIG_COMP_CNT: 0
; COMPUTE_PGM_RSRC3_GFX90A:ACCUM_OFFSET: 63
; COMPUTE_PGM_RSRC3_GFX90A:TG_SPLIT: 0
	.text
	.p2alignl 6, 3212836864
	.fill 256, 4, 3212836864
	.type	__hip_cuid_cf44da3326cecd79,@object ; @__hip_cuid_cf44da3326cecd79
	.section	.bss,"aw",@nobits
	.globl	__hip_cuid_cf44da3326cecd79
__hip_cuid_cf44da3326cecd79:
	.byte	0                               ; 0x0
	.size	__hip_cuid_cf44da3326cecd79, 1

	.ident	"AMD clang version 19.0.0git (https://github.com/RadeonOpenCompute/llvm-project roc-6.4.0 25133 c7fe45cf4b819c5991fe208aaa96edf142730f1d)"
	.section	".note.GNU-stack","",@progbits
	.addrsig
	.addrsig_sym __hip_cuid_cf44da3326cecd79
	.amdgpu_metadata
---
amdhsa.kernels:
  - .agpr_count:     0
    .args:
      - .actual_access:  read_only
        .address_space:  global
        .offset:         0
        .size:           8
        .value_kind:     global_buffer
      - .actual_access:  read_only
        .address_space:  global
        .offset:         8
        .size:           8
        .value_kind:     global_buffer
      - .actual_access:  read_only
        .address_space:  global
        .offset:         16
        .size:           8
        .value_kind:     global_buffer
      - .actual_access:  read_only
        .address_space:  global
        .offset:         24
        .size:           8
        .value_kind:     global_buffer
      - .actual_access:  read_only
        .address_space:  global
        .offset:         32
        .size:           8
        .value_kind:     global_buffer
      - .offset:         40
        .size:           8
        .value_kind:     by_value
      - .address_space:  global
        .offset:         48
        .size:           8
        .value_kind:     global_buffer
      - .address_space:  global
        .offset:         56
        .size:           8
        .value_kind:     global_buffer
      - .address_space:  global
        .offset:         64
        .size:           8
        .value_kind:     global_buffer
      - .address_space:  global
        .offset:         72
        .size:           8
        .value_kind:     global_buffer
      - .offset:         80
        .size:           4
        .value_kind:     by_value
      - .address_space:  global
        .offset:         88
        .size:           8
        .value_kind:     global_buffer
      - .address_space:  global
        .offset:         96
        .size:           8
        .value_kind:     global_buffer
    .group_segment_fixed_size: 6800
    .kernarg_segment_align: 8
    .kernarg_segment_size: 104
    .language:       OpenCL C
    .language_version:
      - 2
      - 0
    .max_flat_workgroup_size: 170
    .name:           bluestein_single_back_len1700_dim1_half_op_CI_CI
    .private_segment_fixed_size: 0
    .sgpr_count:     43
    .sgpr_spill_count: 0
    .symbol:         bluestein_single_back_len1700_dim1_half_op_CI_CI.kd
    .uniform_work_group_size: 1
    .uses_dynamic_stack: false
    .vgpr_count:     255
    .vgpr_spill_count: 0
    .wavefront_size: 64
amdhsa.target:   amdgcn-amd-amdhsa--gfx950
amdhsa.version:
  - 1
  - 2
...

	.end_amdgpu_metadata
